;; amdgpu-corpus repo=ROCm/rocFFT kind=compiled arch=gfx1201 opt=O3
	.text
	.amdgcn_target "amdgcn-amd-amdhsa--gfx1201"
	.amdhsa_code_object_version 6
	.protected	bluestein_single_back_len630_dim1_half_op_CI_CI ; -- Begin function bluestein_single_back_len630_dim1_half_op_CI_CI
	.globl	bluestein_single_back_len630_dim1_half_op_CI_CI
	.p2align	8
	.type	bluestein_single_back_len630_dim1_half_op_CI_CI,@function
bluestein_single_back_len630_dim1_half_op_CI_CI: ; @bluestein_single_back_len630_dim1_half_op_CI_CI
; %bb.0:
	s_load_b128 s[8:11], s[0:1], 0x28
	v_mul_u32_u24_e32 v1, 0x411, v0
	s_mov_b32 s2, exec_lo
	v_mov_b32_e32 v19, 0
	s_delay_alu instid0(VALU_DEP_2) | instskip(NEXT) | instid1(VALU_DEP_1)
	v_lshrrev_b32_e32 v1, 16, v1
	v_add_nc_u32_e32 v18, ttmp9, v1
	s_wait_kmcnt 0x0
	s_delay_alu instid0(VALU_DEP_1)
	v_cmpx_gt_u64_e64 s[8:9], v[18:19]
	s_cbranch_execz .LBB0_31
; %bb.1:
	s_clause 0x1
	s_load_b128 s[4:7], s[0:1], 0x18
	s_load_b64 s[16:17], s[0:1], 0x0
	v_mul_lo_u16 v1, v1, 63
	s_movk_i32 s2, 0xfe9b
	s_mov_b32 s3, -1
	s_delay_alu instid0(VALU_DEP_1) | instskip(NEXT) | instid1(VALU_DEP_1)
	v_sub_nc_u16 v7, v0, v1
	v_and_b32_e32 v58, 0xffff, v7
	s_wait_kmcnt 0x0
	s_load_b128 s[12:15], s[4:5], 0x0
	s_wait_kmcnt 0x0
	v_mad_co_u64_u32 v[0:1], null, s14, v18, 0
	v_mad_co_u64_u32 v[2:3], null, s12, v58, 0
	s_mul_u64 s[4:5], s[12:13], 0xd2
	s_mul_u64 s[2:3], s[12:13], s[2:3]
	s_delay_alu instid0(SALU_CYCLE_1) | instskip(NEXT) | instid1(VALU_DEP_1)
	s_lshl_b64 s[2:3], s[2:3], 2
	v_mad_co_u64_u32 v[4:5], null, s15, v18, v[1:2]
	s_delay_alu instid0(VALU_DEP_1) | instskip(NEXT) | instid1(VALU_DEP_3)
	v_mov_b32_e32 v1, v4
	v_mad_co_u64_u32 v[5:6], null, s13, v58, v[3:4]
	v_lshlrev_b32_e32 v45, 2, v58
	s_lshl_b64 s[12:13], s[4:5], 2
	s_delay_alu instid0(VALU_DEP_3)
	v_lshlrev_b64_e32 v[0:1], 2, v[0:1]
	s_clause 0x2
	global_load_b32 v60, v45, s[16:17]
	global_load_b32 v56, v45, s[16:17] offset:252
	global_load_b32 v54, v45, s[16:17] offset:1092
	v_dual_mov_b32 v3, v5 :: v_dual_add_nc_u32 v6, 0x400, v45
	v_add_co_u32 v0, vcc_lo, s10, v0
	v_add_co_ci_u32_e32 v1, vcc_lo, s11, v1, vcc_lo
	s_delay_alu instid0(VALU_DEP_3)
	v_lshlrev_b64_e32 v[2:3], 2, v[2:3]
	s_clause 0x5
	global_load_b32 v52, v45, s[16:17] offset:1932
	global_load_b32 v59, v45, s[16:17] offset:1680
	;; [unrolled: 1-line block ×6, first 2 shown]
	v_add_co_u32 v0, vcc_lo, v0, v2
	s_wait_alu 0xfffd
	v_add_co_ci_u32_e32 v1, vcc_lo, v1, v3, vcc_lo
	global_load_b32 v8, v[0:1], off
	s_wait_alu 0xfffe
	v_add_co_u32 v0, vcc_lo, v0, s12
	s_wait_alu 0xfffd
	v_add_co_ci_u32_e32 v1, vcc_lo, s13, v1, vcc_lo
	s_delay_alu instid0(VALU_DEP_2) | instskip(SKIP_1) | instid1(VALU_DEP_2)
	v_add_co_u32 v2, vcc_lo, v0, s12
	s_wait_alu 0xfffd
	v_add_co_ci_u32_e32 v3, vcc_lo, s13, v1, vcc_lo
	s_clause 0x1
	global_load_b32 v9, v[0:1], off
	global_load_b32 v10, v[2:3], off
	v_add_co_u32 v0, vcc_lo, v2, s2
	s_wait_alu 0xfffd
	v_add_co_ci_u32_e32 v1, vcc_lo, s3, v3, vcc_lo
	s_delay_alu instid0(VALU_DEP_2) | instskip(SKIP_1) | instid1(VALU_DEP_2)
	v_add_co_u32 v2, vcc_lo, v0, s12
	s_wait_alu 0xfffd
	v_add_co_ci_u32_e32 v3, vcc_lo, s13, v1, vcc_lo
	s_clause 0x1
	global_load_b32 v11, v[0:1], off
	global_load_b32 v12, v[2:3], off
	v_add_co_u32 v0, vcc_lo, v2, s12
	s_wait_alu 0xfffd
	v_add_co_ci_u32_e32 v1, vcc_lo, s13, v3, vcc_lo
	s_delay_alu instid0(VALU_DEP_2) | instskip(SKIP_1) | instid1(VALU_DEP_2)
	v_add_co_u32 v2, vcc_lo, v0, s2
	s_wait_alu 0xfffd
	v_add_co_ci_u32_e32 v3, vcc_lo, s3, v1, vcc_lo
	global_load_b32 v13, v[0:1], off
	v_add_co_u32 v4, vcc_lo, v2, s12
	s_wait_alu 0xfffd
	v_add_co_ci_u32_e32 v5, vcc_lo, s13, v3, vcc_lo
	global_load_b32 v2, v[2:3], off
	;; [unrolled: 4-line block ×3, first 2 shown]
	global_load_b32 v4, v[0:1], off
	s_load_b64 s[4:5], s[0:1], 0x38
	s_load_b128 s[8:11], s[6:7], 0x0
	v_add_co_u32 v16, s6, s16, v45
	s_delay_alu instid0(VALU_DEP_1)
	v_add_co_ci_u32_e64 v17, null, s17, 0, s6
	v_cmp_gt_u16_e32 vcc_lo, 21, v7
	s_wait_loadcnt 0x11
	v_lshrrev_b32_e32 v64, 16, v60
	s_wait_loadcnt 0x10
	v_lshrrev_b32_e32 v57, 16, v56
	;; [unrolled: 2-line block ×7, first 2 shown]
	v_lshrrev_b32_e32 v49, 16, v48
	s_wait_loadcnt 0x9
	v_lshrrev_b32_e32 v47, 16, v46
	s_wait_loadcnt 0x8
	v_lshrrev_b32_e32 v5, 16, v8
	v_mul_f16_e32 v14, v64, v8
	s_delay_alu instid0(VALU_DEP_2) | instskip(NEXT) | instid1(VALU_DEP_2)
	v_mul_f16_e32 v15, v64, v5
	v_fma_f16 v5, v60, v5, -v14
	s_wait_loadcnt 0x7
	v_lshrrev_b32_e32 v19, 16, v9
	v_mul_f16_e32 v20, v63, v9
	v_fmac_f16_e32 v15, v60, v8
	s_wait_loadcnt 0x6
	v_lshrrev_b32_e32 v14, 16, v10
	v_mul_f16_e32 v8, v63, v19
	v_fma_f16 v19, v62, v19, -v20
	v_mul_f16_e32 v20, v61, v10
	v_pack_b32_f16 v5, v15, v5
	s_delay_alu instid0(VALU_DEP_4) | instskip(SKIP_1) | instid1(VALU_DEP_4)
	v_fmac_f16_e32 v8, v62, v9
	v_mul_f16_e32 v9, v61, v14
	v_fma_f16 v14, v59, v14, -v20
	s_wait_loadcnt 0x5
	v_lshrrev_b32_e32 v15, 16, v11
	v_pack_b32_f16 v8, v8, v19
	v_fmac_f16_e32 v9, v59, v10
	s_wait_loadcnt 0x4
	v_lshrrev_b32_e32 v19, 16, v12
	v_mul_f16_e32 v21, v55, v12
	v_mul_f16_e32 v10, v57, v15
	;; [unrolled: 1-line block ×3, first 2 shown]
	v_pack_b32_f16 v9, v9, v14
	ds_store_b32 v45, v8 offset:840
	ds_store_b32 v45, v9 offset:1680
	v_fmac_f16_e32 v10, v56, v11
	v_mul_f16_e32 v11, v55, v19
	v_fma_f16 v14, v54, v19, -v21
	s_wait_loadcnt 0x3
	v_lshrrev_b32_e32 v19, 16, v13
	v_fma_f16 v15, v56, v15, -v20
	v_mul_f16_e32 v20, v53, v13
	v_fmac_f16_e32 v11, v54, v12
	s_delay_alu instid0(VALU_DEP_4) | instskip(NEXT) | instid1(VALU_DEP_4)
	v_mul_f16_e32 v9, v53, v19
	v_pack_b32_f16 v8, v10, v15
	s_wait_loadcnt 0x2
	v_lshrrev_b32_e32 v10, 16, v2
	v_mul_f16_e32 v15, v51, v2
	v_fma_f16 v12, v52, v19, -v20
	v_fmac_f16_e32 v9, v52, v13
	s_wait_loadcnt 0x1
	v_lshrrev_b32_e32 v13, 16, v3
	s_wait_loadcnt 0x0
	v_lshrrev_b32_e32 v20, 16, v4
	v_mul_f16_e32 v19, v51, v10
	v_fma_f16 v10, v50, v10, -v15
	v_mul_f16_e32 v15, v49, v3
	v_mul_f16_e32 v21, v49, v13
	;; [unrolled: 1-line block ×4, first 2 shown]
	v_fmac_f16_e32 v19, v50, v2
	v_fma_f16 v2, v48, v13, -v15
	v_fmac_f16_e32 v21, v48, v3
	v_fma_f16 v3, v46, v20, -v22
	v_fmac_f16_e32 v23, v46, v4
	v_pack_b32_f16 v10, v19, v10
	v_pack_b32_f16 v4, v11, v14
	;; [unrolled: 1-line block ×5, first 2 shown]
	v_add_nc_u32_e32 v11, 0x600, v45
	ds_store_2addr_b32 v45, v5, v8 offset1:63
	ds_store_b32 v45, v10 offset:504
	ds_store_2addr_b32 v6, v4, v2 offset0:17 offset1:80
	ds_store_2addr_b32 v11, v9, v3 offset0:99 offset1:162
	s_and_saveexec_b32 s6, vcc_lo
	s_cbranch_execz .LBB0_3
; %bb.2:
	v_add_co_u32 v0, s2, v0, s2
	s_wait_alu 0xf1ff
	v_add_co_ci_u32_e64 v1, s2, s3, v1, s2
	global_load_b32 v7, v[16:17], off offset:756
	v_add_co_u32 v2, s2, v0, s12
	s_wait_alu 0xf1ff
	v_add_co_ci_u32_e64 v3, s2, s13, v1, s2
	s_delay_alu instid0(VALU_DEP_2) | instskip(SKIP_1) | instid1(VALU_DEP_2)
	v_add_co_u32 v4, s2, v2, s12
	s_wait_alu 0xf1ff
	v_add_co_ci_u32_e64 v5, s2, s13, v3, s2
	global_load_b32 v8, v[16:17], off offset:1596
	global_load_b32 v0, v[0:1], off
	global_load_b32 v1, v[16:17], off offset:2436
	global_load_b32 v2, v[2:3], off
	global_load_b32 v3, v[4:5], off
	s_wait_loadcnt 0x5
	v_lshrrev_b32_e32 v4, 16, v7
	s_wait_loadcnt 0x4
	v_lshrrev_b32_e32 v5, 16, v8
	s_wait_loadcnt 0x3
	v_lshrrev_b32_e32 v9, 16, v0
	v_mul_f16_e32 v10, v4, v0
	s_wait_loadcnt 0x1
	v_lshrrev_b32_e32 v12, 16, v2
	v_lshrrev_b32_e32 v11, 16, v1
	s_wait_loadcnt 0x0
	v_lshrrev_b32_e32 v13, 16, v3
	v_mul_f16_e32 v4, v4, v9
	v_fma_f16 v9, v7, v9, -v10
	v_mul_f16_e32 v10, v5, v2
	v_mul_f16_e32 v5, v5, v12
	;; [unrolled: 1-line block ×4, first 2 shown]
	v_fmac_f16_e32 v4, v7, v0
	v_fma_f16 v0, v8, v12, -v10
	v_fmac_f16_e32 v5, v8, v2
	v_fmac_f16_e32 v14, v1, v3
	v_fma_f16 v1, v1, v13, -v11
	v_pack_b32_f16 v2, v4, v9
	v_add_nc_u32_e32 v3, 0x280, v45
	v_pack_b32_f16 v0, v5, v0
	s_delay_alu instid0(VALU_DEP_4)
	v_pack_b32_f16 v1, v14, v1
	ds_store_2addr_b32 v3, v2, v0 offset0:29 offset1:239
	ds_store_b32 v45, v1 offset:2436
.LBB0_3:
	s_wait_alu 0xfffe
	s_or_b32 exec_lo, exec_lo, s6
	global_wb scope:SCOPE_SE
	s_wait_dscnt 0x0
	s_wait_kmcnt 0x0
	s_barrier_signal -1
	s_barrier_wait -1
	global_inv scope:SCOPE_SE
	ds_load_2addr_b32 v[8:9], v45 offset1:63
	ds_load_2addr_b32 v[4:5], v45 offset0:126 offset1:210
	ds_load_2addr_b32 v[2:3], v6 offset0:164 offset1:227
	ds_load_2addr_b32 v[6:7], v6 offset0:17 offset1:80
	ds_load_b32 v12, v45 offset:2184
                                        ; implicit-def: $vgpr11
                                        ; implicit-def: $vgpr1
	s_and_saveexec_b32 s2, vcc_lo
	s_cbranch_execz .LBB0_5
; %bb.4:
	v_add_nc_u32_e32 v0, 0x280, v45
	ds_load_2addr_b32 v[0:1], v0 offset0:29 offset1:239
	ds_load_b32 v11, v45 offset:2436
.LBB0_5:
	s_wait_alu 0xfffe
	s_or_b32 exec_lo, exec_lo, s2
	s_wait_dscnt 0x0
	v_pk_add_f16 v10, v1, v11
	v_pk_add_f16 v13, v1, v11 neg_lo:[0,1] neg_hi:[0,1]
	v_pk_add_f16 v20, v8, v5
	v_pk_add_f16 v23, v5, v2
	v_pk_add_f16 v5, v5, v2 neg_lo:[0,1] neg_hi:[0,1]
	v_pk_fma_f16 v19, v10, 0.5, v0 op_sel_hi:[1,0,1] neg_lo:[1,0,0] neg_hi:[1,0,0]
	v_pk_add_f16 v0, v1, v0
	s_load_b64 s[2:3], s[0:1], 0x8
	v_add_co_u32 v15, s0, 0x7e, v58
	s_wait_alu 0xf1ff
	v_add_co_ci_u32_e64 v10, null, 0, 0, s0
	v_pk_fma_f16 v10, 0x3aee, v13, v19 op_sel:[0,0,1] op_sel_hi:[0,1,0]
	v_pk_add_f16 v0, v11, v0
	v_pk_fma_f16 v11, 0x3aee, v13, v19 op_sel:[0,0,1] op_sel_hi:[0,1,0] neg_lo:[0,1,0] neg_hi:[0,1,0]
	v_mul_lo_u16 v13, v58, 3
	v_pk_fma_f16 v8, v23, 0.5, v8 op_sel_hi:[1,0,1] neg_lo:[1,0,0] neg_hi:[1,0,0]
	v_pk_mul_f16 v5, 0x3aee, v5 op_sel_hi:[0,1]
	v_pk_add_f16 v21, v9, v6
	v_pk_add_f16 v22, v4, v7
	v_and_b32_e32 v13, 0xffff, v13
	v_pk_add_f16 v2, v20, v2
	v_pk_add_f16 v19, v8, v5 op_sel:[0,1] op_sel_hi:[1,0]
	v_pk_add_f16 v5, v8, v5 op_sel:[0,1] op_sel_hi:[1,0] neg_lo:[0,1] neg_hi:[0,1]
	v_pk_add_f16 v8, v6, v3
	v_pk_add_f16 v6, v6, v3 neg_lo:[0,1] neg_hi:[0,1]
	v_lshlrev_b32_e32 v66, 2, v13
	v_add_co_u32 v27, null, v58, 63
	v_bfi_b32 v13, 0xffff, v19, v5
	v_pk_fma_f16 v8, v8, 0.5, v9 op_sel_hi:[1,0,1] neg_lo:[1,0,0] neg_hi:[1,0,0]
	v_pk_add_f16 v9, v7, v12
	v_pk_add_f16 v7, v7, v12 neg_lo:[0,1] neg_hi:[0,1]
	v_bfi_b32 v5, 0xffff, v5, v19
	v_pk_mul_f16 v6, 0x3aee, v6 op_sel_hi:[0,1]
	global_wb scope:SCOPE_SE
	s_wait_kmcnt 0x0
	s_barrier_signal -1
	s_barrier_wait -1
	global_inv scope:SCOPE_SE
	ds_store_2addr_b32 v66, v2, v13 offset1:1
	ds_store_b32 v66, v5 offset:8
	v_pk_fma_f16 v2, v9, 0.5, v4 op_sel_hi:[1,0,1] neg_lo:[1,0,0] neg_hi:[1,0,0]
	v_pk_mul_f16 v4, 0x3aee, v7 op_sel_hi:[0,1]
	v_add_co_u32 v14, null, 0xbd, v58
	v_mul_u32_u24_e32 v19, 3, v27
	v_pk_add_f16 v5, v8, v6 op_sel:[0,1] op_sel_hi:[1,0]
	v_pk_add_f16 v6, v8, v6 op_sel:[0,1] op_sel_hi:[1,0] neg_lo:[0,1] neg_hi:[0,1]
	v_mul_u32_u24_e32 v7, 3, v15
	v_pk_add_f16 v8, v2, v4 op_sel:[0,1] op_sel_hi:[1,0]
	v_pk_add_f16 v2, v2, v4 op_sel:[0,1] op_sel_hi:[1,0] neg_lo:[0,1] neg_hi:[0,1]
	v_lshrrev_b32_e32 v1, 16, v10
	v_lshlrev_b32_e32 v68, 2, v19
	v_pk_add_f16 v3, v21, v3
	v_bfi_b32 v4, 0xffff, v5, v6
	v_lshlrev_b32_e32 v70, 2, v7
	v_mul_u32_u24_e32 v69, 3, v14
	v_bfi_b32 v5, 0xffff, v6, v5
	v_pk_add_f16 v6, v22, v12
	v_bfi_b32 v7, 0xffff, v8, v2
	v_bfi_b32 v2, 0xffff, v2, v8
	ds_store_2addr_b32 v68, v3, v4 offset1:1
	ds_store_b32 v68, v5 offset:8
	ds_store_2addr_b32 v70, v6, v7 offset1:1
	ds_store_b32 v70, v2 offset:8
	s_and_saveexec_b32 s0, vcc_lo
	s_cbranch_execz .LBB0_7
; %bb.6:
	v_lshlrev_b32_e32 v2, 2, v69
	v_perm_b32 v3, v11, v1, 0x5040100
	v_alignbit_b32 v4, v10, v11, 16
	ds_store_b32 v2, v0
	ds_store_2addr_b32 v2, v3, v4 offset0:1 offset1:2
.LBB0_7:
	s_wait_alu 0xfffe
	s_or_b32 exec_lo, exec_lo, s0
	v_add_nc_u32_e32 v6, 0x400, v45
	global_wb scope:SCOPE_SE
	s_wait_dscnt 0x0
	s_barrier_signal -1
	s_barrier_wait -1
	global_inv scope:SCOPE_SE
	ds_load_2addr_b32 v[4:5], v45 offset1:63
	ds_load_2addr_b32 v[2:3], v45 offset0:126 offset1:210
	ds_load_2addr_b32 v[8:9], v6 offset0:164 offset1:227
	;; [unrolled: 1-line block ×3, first 2 shown]
	ds_load_b32 v13, v45 offset:2184
	s_and_saveexec_b32 s0, vcc_lo
	s_cbranch_execz .LBB0_9
; %bb.8:
	v_add_nc_u32_e32 v0, 0x280, v45
	ds_load_b32 v11, v45 offset:2436
	ds_load_2addr_b32 v[0:1], v0 offset0:29 offset1:239
	s_wait_dscnt 0x1
	v_lshrrev_b32_e32 v10, 16, v11
	s_wait_dscnt 0x0
	v_alignbit_b32 v11, v11, v1, 16
.LBB0_9:
	s_wait_alu 0xfffe
	s_or_b32 exec_lo, exec_lo, s0
	v_and_b32_e32 v12, 0xff, v58
	v_and_b32_e32 v28, 0xff, v27
	;; [unrolled: 1-line block ×4, first 2 shown]
	s_wait_dscnt 0x3
	v_lshrrev_b32_e32 v36, 16, v3
	v_mul_lo_u16 v20, 0xab, v12
	v_mul_lo_u16 v22, 0xab, v28
	;; [unrolled: 1-line block ×3, first 2 shown]
	s_wait_dscnt 0x2
	v_lshrrev_b32_e32 v37, 16, v8
	s_wait_dscnt 0x1
	v_lshrrev_b32_e32 v39, 16, v6
	v_lshrrev_b16 v29, 9, v20
	v_mul_lo_u16 v20, 0xab, v21
	v_lshrrev_b16 v30, 9, v22
	v_lshrrev_b16 v31, 9, v19
	v_lshrrev_b32_e32 v40, 16, v9
	v_mul_lo_u16 v19, v29, 3
	v_lshrrev_b16 v32, 9, v20
	v_mul_lo_u16 v20, v30, 3
	v_mul_lo_u16 v21, v31, 3
	v_lshrrev_b32_e32 v42, 16, v7
	v_sub_nc_u16 v19, v58, v19
	v_mul_lo_u16 v22, v32, 3
	v_sub_nc_u16 v20, v27, v20
	v_sub_nc_u16 v15, v15, v21
	v_lshrrev_b32_e32 v43, 16, v11
	v_and_b32_e32 v33, 0xff, v19
	v_sub_nc_u16 v14, v14, v22
	v_and_b32_e32 v34, 0xff, v20
	v_and_b32_e32 v15, 0xff, v15
	;; [unrolled: 1-line block ×3, first 2 shown]
	v_lshlrev_b32_e32 v19, 3, v33
	v_and_b32_e32 v65, 0xff, v14
	v_lshlrev_b32_e32 v14, 3, v34
	v_lshlrev_b32_e32 v20, 3, v15
	v_lshrrev_b32_e32 v35, 16, v4
	global_load_b64 v[25:26], v19, s[2:3]
	v_lshlrev_b32_e32 v19, 3, v65
	v_lshrrev_b32_e32 v38, 16, v5
	s_clause 0x2
	global_load_b64 v[23:24], v14, s[2:3]
	global_load_b64 v[21:22], v20, s[2:3]
	;; [unrolled: 1-line block ×3, first 2 shown]
	v_and_b32_e32 v14, 0xffff, v29
	v_and_b32_e32 v29, 0xffff, v30
	;; [unrolled: 1-line block ×3, first 2 shown]
	s_wait_dscnt 0x0
	v_lshrrev_b32_e32 v31, 16, v13
	v_lshrrev_b32_e32 v41, 16, v2
	v_mul_u32_u24_e32 v44, 9, v14
	v_mul_u32_u24_e32 v29, 9, v29
	;; [unrolled: 1-line block ×3, first 2 shown]
	v_lshrrev_b32_e32 v14, 16, v0
	global_wb scope:SCOPE_SE
	s_wait_loadcnt 0x0
	v_add_lshl_u32 v74, v44, v33, 2
	v_add_lshl_u32 v73, v29, v34, 2
	;; [unrolled: 1-line block ×3, first 2 shown]
	s_barrier_signal -1
	s_barrier_wait -1
	global_inv scope:SCOPE_SE
	v_lshrrev_b32_e32 v84, 16, v25
	v_lshrrev_b32_e32 v83, 16, v26
	;; [unrolled: 1-line block ×8, first 2 shown]
	v_mul_f16_e32 v30, v36, v84
	v_mul_f16_e32 v32, v3, v84
	;; [unrolled: 1-line block ×16, first 2 shown]
	v_fma_f16 v30, v3, v25, -v30
	v_fmac_f16_e32 v32, v36, v25
	v_fma_f16 v8, v8, v26, -v33
	v_fmac_f16_e32 v34, v37, v26
	;; [unrolled: 2-line block ×8, first 2 shown]
	v_add_f16_e32 v11, v30, v8
	v_sub_f16_e32 v33, v32, v34
	v_add_f16_e32 v31, v35, v32
	v_add_f16_e32 v32, v32, v34
	;; [unrolled: 1-line block ×7, first 2 shown]
	v_sub_f16_e32 v30, v30, v8
	v_add_f16_e32 v36, v5, v6
	v_sub_f16_e32 v39, v67, v76
	v_add_f16_e32 v40, v38, v67
	v_add_f16_e32 v43, v2, v7
	v_sub_f16_e32 v67, v86, v88
	v_add_f16_e32 v75, v41, v86
	v_add_f16_e32 v86, v3, v1
	;; [unrolled: 1-line block ×3, first 2 shown]
	v_fma_f16 v4, -0.5, v11, v4
	v_fmac_f16_e32 v35, -0.5, v32
	v_sub_f16_e32 v6, v6, v9
	v_fmac_f16_e32 v5, -0.5, v37
	v_fmac_f16_e32 v38, -0.5, v42
	v_sub_f16_e32 v7, v7, v13
	v_fmac_f16_e32 v2, -0.5, v44
	v_fmac_f16_e32 v41, -0.5, v85
	v_sub_f16_e32 v87, v29, v15
	v_sub_f16_e32 v90, v3, v1
	v_add_f16_e32 v8, v10, v8
	v_add_f16_e32 v10, v31, v34
	;; [unrolled: 1-line block ×4, first 2 shown]
	v_fma_f16 v31, -0.5, v86, v0
	v_fma_f16 v43, -0.5, v89, v14
	v_fmamk_f16 v36, v33, 0x3aee, v4
	v_fmac_f16_e32 v4, 0xbaee, v33
	v_fmamk_f16 v33, v30, 0xbaee, v35
	v_fmac_f16_e32 v35, 0x3aee, v30
	v_add_f16_e32 v11, v40, v76
	v_fmamk_f16 v30, v39, 0x3aee, v5
	v_fmamk_f16 v37, v6, 0xbaee, v38
	v_fmac_f16_e32 v5, 0xbaee, v39
	v_fmac_f16_e32 v38, 0x3aee, v6
	v_add_f16_e32 v32, v75, v88
	v_fmamk_f16 v6, v67, 0x3aee, v2
	v_fmamk_f16 v39, v7, 0xbaee, v41
	v_fmac_f16_e32 v2, 0xbaee, v67
	v_fmac_f16_e32 v41, 0x3aee, v7
	v_fmamk_f16 v34, v87, 0x3aee, v31
	v_fmac_f16_e32 v31, 0xbaee, v87
	v_fmamk_f16 v44, v90, 0xbaee, v43
	v_fmac_f16_e32 v43, 0x3aee, v90
	v_pack_b32_f16 v7, v8, v10
	v_pack_b32_f16 v10, v36, v33
	v_pack_b32_f16 v4, v4, v35
	v_pack_b32_f16 v8, v9, v11
	v_pack_b32_f16 v11, v30, v37
	v_pack_b32_f16 v5, v5, v38
	v_pack_b32_f16 v9, v13, v32
	v_pack_b32_f16 v6, v6, v39
	v_pack_b32_f16 v2, v2, v41
	ds_store_2addr_b32 v74, v7, v10 offset1:3
	ds_store_b32 v74, v4 offset:24
	ds_store_2addr_b32 v73, v8, v11 offset1:3
	ds_store_b32 v73, v5 offset:24
	;; [unrolled: 2-line block ×3, first 2 shown]
	s_and_saveexec_b32 s0, vcc_lo
	s_cbranch_execz .LBB0_11
; %bb.10:
	v_add_f16_e32 v2, v14, v29
	v_add_f16_e32 v0, v0, v3
	v_mul_u32_u24_e32 v3, 9, v71
	s_delay_alu instid0(VALU_DEP_3) | instskip(NEXT) | instid1(VALU_DEP_3)
	v_add_f16_e32 v2, v2, v15
	v_add_f16_e32 v0, v0, v1
	v_perm_b32 v1, v44, v34, 0x5040100
	s_delay_alu instid0(VALU_DEP_4) | instskip(NEXT) | instid1(VALU_DEP_3)
	v_add_lshl_u32 v3, v3, v65, 2
	v_pack_b32_f16 v0, v0, v2
	v_perm_b32 v2, v43, v31, 0x5040100
	ds_store_2addr_b32 v3, v0, v1 offset1:3
	ds_store_b32 v3, v2 offset:24
.LBB0_11:
	s_wait_alu 0xfffe
	s_or_b32 exec_lo, exec_lo, s0
	v_mul_lo_u16 v0, v12, 57
	v_mul_lo_u16 v1, v28, 57
	global_wb scope:SCOPE_SE
	s_wait_dscnt 0x0
	s_barrier_signal -1
	s_barrier_wait -1
	v_lshrrev_b16 v32, 9, v0
	v_lshrrev_b16 v33, 9, v1
	global_inv scope:SCOPE_SE
	v_add_nc_u32_e32 v5, 0x200, v45
	v_add_nc_u32_e32 v39, 0x400, v45
	v_mul_lo_u16 v0, v32, 9
	v_mul_lo_u16 v1, v33, 9
	v_add_nc_u32_e32 v4, 0x600, v45
	v_and_b32_e32 v32, 0xffff, v32
	v_and_b32_e32 v33, 0xffff, v33
	v_sub_nc_u16 v0, v58, v0
	v_sub_nc_u16 v1, v27, v1
	v_cmp_gt_u16_e64 s0, 27, v58
	v_mul_u32_u24_e32 v32, 45, v32
	v_mul_u32_u24_e32 v33, 45, v33
	v_and_b32_e32 v37, 0xff, v0
	v_and_b32_e32 v38, 0xff, v1
	s_delay_alu instid0(VALU_DEP_2) | instskip(NEXT) | instid1(VALU_DEP_2)
	v_lshlrev_b32_e32 v0, 4, v37
	v_lshlrev_b32_e32 v1, 4, v38
	v_add_lshl_u32 v76, v32, v37, 2
	v_add_lshl_u32 v75, v33, v38, 2
	s_clause 0x1
	global_load_b128 v[8:11], v0, s[2:3] offset:24
	global_load_b128 v[0:3], v1, s[2:3] offset:24
	ds_load_2addr_b32 v[35:36], v45 offset1:63
	ds_load_2addr_b32 v[6:7], v45 offset0:126 offset1:189
	ds_load_2addr_b32 v[12:13], v5 offset0:124 offset1:187
	ds_load_2addr_b32 v[14:15], v39 offset0:122 offset1:185
	ds_load_2addr_b32 v[29:30], v4 offset0:120 offset1:183
	global_wb scope:SCOPE_SE
	s_wait_loadcnt_dscnt 0x0
	s_barrier_signal -1
	s_barrier_wait -1
	global_inv scope:SCOPE_SE
	v_lshrrev_b32_e32 v67, 16, v12
	v_lshrrev_b32_e32 v41, 16, v6
	;; [unrolled: 1-line block ×18, first 2 shown]
	v_mul_f16_e32 v32, v41, v94
	v_mul_f16_e32 v33, v6, v94
	;; [unrolled: 1-line block ×16, first 2 shown]
	v_fma_f16 v6, v6, v8, -v32
	v_fmac_f16_e32 v33, v41, v8
	v_fma_f16 v12, v12, v9, -v37
	v_fmac_f16_e32 v38, v67, v9
	v_fma_f16 v14, v14, v10, -v99
	v_fmac_f16_e32 v100, v90, v10
	v_fma_f16 v29, v29, v11, -v101
	v_fmac_f16_e32 v102, v95, v11
	v_fma_f16 v7, v7, v0, -v103
	v_fma_f16 v13, v13, v1, -v105
	v_fmac_f16_e32 v106, v96, v1
	v_fma_f16 v15, v15, v2, -v107
	v_fmac_f16_e32 v108, v97, v2
	v_fmac_f16_e32 v104, v42, v0
	v_fma_f16 v30, v30, v3, -v109
	v_fmac_f16_e32 v110, v98, v3
	v_add_f16_e32 v32, v35, v6
	v_add_f16_e32 v37, v12, v14
	v_sub_f16_e32 v67, v6, v12
	v_sub_f16_e32 v90, v29, v14
	v_add_f16_e32 v95, v6, v29
	v_add_f16_e32 v98, v40, v33
	;; [unrolled: 1-line block ×4, first 2 shown]
	v_sub_f16_e32 v41, v33, v102
	v_sub_f16_e32 v96, v12, v6
	;; [unrolled: 1-line block ×6, first 2 shown]
	v_add_f16_e32 v111, v36, v7
	v_add_f16_e32 v112, v13, v15
	;; [unrolled: 1-line block ×6, first 2 shown]
	v_sub_f16_e32 v42, v38, v100
	v_sub_f16_e32 v6, v6, v29
	v_sub_f16_e32 v101, v12, v14
	v_add_f16_e32 v12, v32, v12
	v_fma_f16 v32, -0.5, v37, v35
	v_add_f16_e32 v37, v67, v90
	v_fma_f16 v67, -0.5, v95, v35
	;; [unrolled: 2-line block ×3, first 2 shown]
	v_fmac_f16_e32 v40, -0.5, v107
	v_sub_f16_e32 v113, v104, v110
	v_sub_f16_e32 v115, v7, v13
	;; [unrolled: 1-line block ×5, first 2 shown]
	v_add_f16_e32 v90, v96, v97
	v_add_f16_e32 v98, v33, v109
	;; [unrolled: 1-line block ×3, first 2 shown]
	v_fma_f16 v33, -0.5, v112, v36
	v_fma_f16 v96, -0.5, v121, v93
	v_sub_f16_e32 v114, v106, v108
	v_fmac_f16_e32 v36, -0.5, v117
	v_add_f16_e32 v95, v120, v106
	v_fmac_f16_e32 v93, -0.5, v125
	v_sub_f16_e32 v105, v102, v100
	v_add_f16_e32 v12, v12, v14
	v_fmamk_f16 v14, v41, 0x3b9c, v32
	v_fmamk_f16 v107, v6, 0xbb9c, v38
	v_sub_f16_e32 v123, v104, v106
	v_sub_f16_e32 v104, v106, v104
	v_fmamk_f16 v106, v42, 0xbb9c, v67
	v_fmac_f16_e32 v67, 0x3b9c, v42
	v_fmamk_f16 v109, v101, 0x3b9c, v40
	v_fmac_f16_e32 v40, 0xbb9c, v101
	v_fmac_f16_e32 v32, 0xbb9c, v41
	;; [unrolled: 1-line block ×3, first 2 shown]
	v_sub_f16_e32 v116, v30, v15
	v_sub_f16_e32 v119, v15, v30
	;; [unrolled: 1-line block ×3, first 2 shown]
	v_add_f16_e32 v13, v13, v15
	v_fmamk_f16 v15, v113, 0x3b9c, v33
	v_fmamk_f16 v111, v7, 0xbb9c, v96
	v_sub_f16_e32 v126, v108, v110
	v_add_f16_e32 v100, v35, v100
	v_fmac_f16_e32 v33, 0xbb9c, v113
	v_fmamk_f16 v35, v114, 0xbb9c, v36
	v_fmac_f16_e32 v36, 0x3b9c, v114
	v_add_f16_e32 v108, v95, v108
	v_fmac_f16_e32 v96, 0x3b9c, v7
	v_fmamk_f16 v95, v122, 0x3b9c, v93
	v_fmac_f16_e32 v93, 0xbb9c, v122
	v_add_f16_e32 v97, v103, v105
	v_fmac_f16_e32 v14, 0x38b4, v42
	v_fmac_f16_e32 v107, 0xb8b4, v101
	;; [unrolled: 1-line block ×8, first 2 shown]
	v_add_f16_e32 v99, v115, v116
	v_add_f16_e32 v105, v123, v124
	v_fmac_f16_e32 v15, 0x38b4, v114
	v_fmac_f16_e32 v111, 0xb8b4, v122
	v_add_f16_e32 v103, v118, v119
	v_add_f16_e32 v104, v104, v126
	v_fmac_f16_e32 v33, 0xb8b4, v114
	v_fmac_f16_e32 v35, 0x38b4, v113
	;; [unrolled: 1-line block ×6, first 2 shown]
	v_add_f16_e32 v12, v12, v29
	v_add_f16_e32 v29, v100, v102
	v_fmac_f16_e32 v14, 0x34f2, v37
	v_fmac_f16_e32 v107, 0x34f2, v97
	v_add_f16_e32 v6, v13, v30
	v_add_f16_e32 v13, v108, v110
	v_fmac_f16_e32 v106, 0x34f2, v90
	v_fmac_f16_e32 v67, 0x34f2, v90
	;; [unrolled: 1-line block ×14, first 2 shown]
	v_pack_b32_f16 v7, v12, v29
	v_pack_b32_f16 v12, v14, v107
	;; [unrolled: 1-line block ×10, first 2 shown]
	ds_store_2addr_b32 v76, v7, v12 offset1:9
	ds_store_2addr_b32 v76, v13, v14 offset0:18 offset1:27
	ds_store_b32 v76, v29 offset:144
	ds_store_2addr_b32 v75, v6, v15 offset1:9
	ds_store_2addr_b32 v75, v30, v32 offset0:18 offset1:27
	ds_store_b32 v75, v37 offset:144
	global_wb scope:SCOPE_SE
	s_wait_dscnt 0x0
	s_barrier_signal -1
	s_barrier_wait -1
	global_inv scope:SCOPE_SE
	ds_load_2addr_b32 v[37:38], v45 offset1:90
	ds_load_2addr_b32 v[41:42], v5 offset0:52 offset1:142
	ds_load_2addr_b32 v[39:40], v39 offset0:104 offset1:194
	ds_load_b32 v99, v45 offset:2160
                                        ; implicit-def: $vgpr98
                                        ; implicit-def: $vgpr97
                                        ; implicit-def: $vgpr104
	s_and_saveexec_b32 s1, s0
	s_cbranch_execz .LBB0_13
; %bb.12:
	ds_load_2addr_b32 v[35:36], v45 offset0:63 offset1:153
	ds_load_2addr_b32 v[33:34], v5 offset0:115 offset1:205
	;; [unrolled: 1-line block ×3, first 2 shown]
	ds_load_b32 v97, v45 offset:2412
	s_wait_dscnt 0x3
	v_lshrrev_b32_e32 v95, 16, v35
	v_lshrrev_b32_e32 v93, 16, v36
	s_wait_dscnt 0x2
	v_lshrrev_b32_e32 v96, 16, v33
	v_lshrrev_b32_e32 v44, 16, v34
	;; [unrolled: 3-line block ×3, first 2 shown]
	s_wait_dscnt 0x0
	v_lshrrev_b32_e32 v104, 16, v97
.LBB0_13:
	s_wait_alu 0xfffe
	s_or_b32 exec_lo, exec_lo, s1
	v_subrev_nc_u32_e32 v4, 45, v58
	v_cmp_gt_u16_e64 s1, 45, v58
	s_wait_dscnt 0x3
	v_lshrrev_b32_e32 v101, 16, v38
	s_wait_dscnt 0x2
	v_lshrrev_b32_e32 v102, 16, v41
	;; [unrolled: 2-line block ×4, first 2 shown]
	s_wait_alu 0xf1ff
	v_cndmask_b32_e64 v90, v4, v58, s1
	v_lshrrev_b32_e32 v105, 16, v42
	v_lshrrev_b32_e32 v106, 16, v39
	;; [unrolled: 1-line block ×3, first 2 shown]
	s_delay_alu instid0(VALU_DEP_4) | instskip(SKIP_1) | instid1(VALU_DEP_2)
	v_mul_i32_i24_e32 v4, 24, v90
	v_mul_hi_i32_i24_e32 v5, 24, v90
	v_add_co_u32 v4, s1, s2, v4
	s_wait_alu 0xf1ff
	s_delay_alu instid0(VALU_DEP_2)
	v_add_co_ci_u32_e64 v5, s1, s3, v5, s1
	v_cmp_lt_u16_e64 s1, 44, v58
	s_clause 0x1
	global_load_b128 v[12:15], v[4:5], off offset:168
	global_load_b64 v[29:30], v[4:5], off offset:184
	v_mul_lo_u16 v4, 0x6d, v28
	s_wait_alu 0xf1ff
	v_cndmask_b32_e64 v103, 0, 0x13b, s1
	s_delay_alu instid0(VALU_DEP_2) | instskip(NEXT) | instid1(VALU_DEP_2)
	v_lshrrev_b16 v4, 8, v4
	v_add_lshl_u32 v90, v90, v103, 2
	s_delay_alu instid0(VALU_DEP_2) | instskip(NEXT) | instid1(VALU_DEP_1)
	v_sub_nc_u16 v5, v27, v4
	v_lshrrev_b16 v5, 1, v5
	s_delay_alu instid0(VALU_DEP_1) | instskip(NEXT) | instid1(VALU_DEP_1)
	v_and_b32_e32 v5, 0x7f, v5
	v_add_nc_u16 v4, v5, v4
	s_delay_alu instid0(VALU_DEP_1) | instskip(NEXT) | instid1(VALU_DEP_1)
	v_lshrrev_b16 v4, 5, v4
	v_mul_lo_u16 v4, v4, 45
	s_delay_alu instid0(VALU_DEP_1) | instskip(NEXT) | instid1(VALU_DEP_1)
	v_sub_nc_u16 v4, v27, v4
	v_and_b32_e32 v67, 0xff, v4
	s_delay_alu instid0(VALU_DEP_1)
	v_mad_co_u64_u32 v[27:28], null, v67, 24, s[2:3]
	s_clause 0x1
	global_load_b128 v[4:7], v[27:28], off offset:168
	global_load_b64 v[27:28], v[27:28], off offset:184
	global_wb scope:SCOPE_SE
	s_wait_loadcnt 0x0
	s_barrier_signal -1
	s_barrier_wait -1
	global_inv scope:SCOPE_SE
	v_lshrrev_b32_e32 v115, 16, v12
	v_lshrrev_b32_e32 v114, 16, v13
	;; [unrolled: 1-line block ×6, first 2 shown]
	v_mul_f16_e32 v103, v101, v115
	v_mul_f16_e32 v109, v38, v115
	;; [unrolled: 1-line block ×12, first 2 shown]
	v_fma_f16 v38, v38, v12, -v103
	v_fmac_f16_e32 v109, v101, v12
	v_fma_f16 v41, v41, v13, -v116
	v_fmac_f16_e32 v117, v102, v13
	v_fma_f16 v99, v99, v30, -v124
	v_fmac_f16_e32 v125, v108, v30
	v_fma_f16 v40, v40, v29, -v122
	v_fmac_f16_e32 v123, v107, v29
	v_fma_f16 v42, v42, v14, -v118
	v_fmac_f16_e32 v119, v105, v14
	v_fma_f16 v39, v39, v15, -v120
	v_fmac_f16_e32 v121, v106, v15
	v_add_f16_e32 v101, v38, v99
	v_add_f16_e32 v102, v109, v125
	;; [unrolled: 1-line block ×4, first 2 shown]
	v_sub_f16_e32 v38, v38, v99
	v_sub_f16_e32 v99, v109, v125
	;; [unrolled: 1-line block ×4, first 2 shown]
	v_add_f16_e32 v106, v42, v39
	v_add_f16_e32 v107, v119, v121
	v_sub_f16_e32 v39, v39, v42
	v_sub_f16_e32 v42, v121, v119
	v_add_f16_e32 v108, v103, v101
	v_add_f16_e32 v109, v105, v102
	v_sub_f16_e32 v116, v103, v101
	v_sub_f16_e32 v117, v105, v102
	;; [unrolled: 1-line block ×6, first 2 shown]
	v_add_f16_e32 v118, v39, v40
	v_add_f16_e32 v119, v42, v41
	v_sub_f16_e32 v120, v39, v40
	v_sub_f16_e32 v121, v42, v41
	;; [unrolled: 1-line block ×4, first 2 shown]
	v_add_f16_e32 v106, v106, v108
	v_add_f16_e32 v107, v107, v109
	v_sub_f16_e32 v39, v38, v39
	v_sub_f16_e32 v42, v99, v42
	v_add_f16_e32 v38, v118, v38
	v_add_f16_e32 v99, v119, v99
	v_mul_f16_e32 v101, 0x3a52, v101
	v_mul_f16_e32 v102, 0x3a52, v102
	;; [unrolled: 1-line block ×8, first 2 shown]
	v_add_f16_e32 v37, v37, v106
	v_add_f16_e32 v100, v100, v107
	v_fmamk_f16 v122, v103, 0x2b26, v101
	v_fmamk_f16 v123, v105, 0x2b26, v102
	v_fma_f16 v108, v116, 0x39e0, -v108
	v_fma_f16 v109, v117, 0x39e0, -v109
	;; [unrolled: 1-line block ×4, first 2 shown]
	v_fmamk_f16 v124, v39, 0x3574, v118
	v_fmamk_f16 v125, v42, 0x3574, v119
	v_fma_f16 v40, v40, 0x3b00, -v118
	v_fma_f16 v41, v41, 0x3b00, -v119
	;; [unrolled: 1-line block ×4, first 2 shown]
	v_fmamk_f16 v106, v106, 0xbcab, v37
	v_fmamk_f16 v107, v107, 0xbcab, v100
	v_pack_b32_f16 v121, v37, v100
	v_lshrrev_b32_e32 v103, 16, v4
	v_lshrrev_b32_e32 v101, 16, v5
	;; [unrolled: 1-line block ×5, first 2 shown]
	v_fmac_f16_e32 v124, 0x370e, v38
	v_fmac_f16_e32 v125, 0x370e, v99
	;; [unrolled: 1-line block ×6, first 2 shown]
	v_lshrrev_b32_e32 v99, 16, v6
	v_add_f16_e32 v37, v122, v106
	v_add_f16_e32 v38, v123, v107
	;; [unrolled: 1-line block ×6, first 2 shown]
	v_mul_f16_e32 v116, v93, v103
	v_mul_f16_e32 v117, v36, v103
	;; [unrolled: 1-line block ×6, first 2 shown]
	v_mul_f16_e64 v128, v32, v102
	v_mul_f16_e64 v129, v104, v105
	;; [unrolled: 1-line block ×3, first 2 shown]
	v_mul_f16_e32 v120, v44, v99
	v_mul_f16_e32 v122, v34, v99
	;; [unrolled: 1-line block ×3, first 2 shown]
	v_add_f16_e64 v131, v125, v37
	v_sub_f16_e64 v132, v38, v124
	v_sub_f16_e64 v135, v108, v41
	v_add_f16_e64 v136, v40, v109
	v_add_f16_e32 v41, v41, v108
	v_sub_f16_e32 v40, v109, v40
	v_sub_f16_e32 v37, v37, v125
	v_add_f16_e32 v38, v124, v38
	v_fma_f16 v36, v36, v4, -v116
	v_fmac_f16_e32 v117, v93, v4
	v_fma_f16 v33, v33, v5, -v118
	v_fmac_f16_e32 v119, v96, v5
	v_fmac_f16_e32 v126, v43, v7
	v_fma_f16 v32, v32, v27, -v127
	v_fmac_f16_e64 v128, v98, v27
	v_fma_f16 v43, v97, v28, -v129
	v_fmac_f16_e64 v130, v104, v28
	v_add_f16_e64 v133, v42, v106
	v_sub_f16_e64 v134, v107, v39
	v_sub_f16_e32 v42, v106, v42
	v_add_f16_e32 v39, v39, v107
	v_fma_f16 v34, v34, v6, -v120
	v_fmac_f16_e32 v122, v44, v6
	v_fma_f16 v31, v31, v7, -v123
	v_pack_b32_f16 v97, v41, v40
	v_pack_b32_f16 v104, v37, v38
	v_add_f16_e32 v37, v36, v43
	v_add_f16_e64 v38, v117, v130
	v_add_f16_e32 v40, v33, v32
	v_add_f16_e64 v41, v119, v128
	v_pack_b32_f16 v98, v42, v39
	v_sub_f16_e32 v36, v36, v43
	v_sub_f16_e64 v39, v117, v130
	v_sub_f16_e32 v32, v33, v32
	v_sub_f16_e64 v33, v119, v128
	v_add_f16_e32 v42, v34, v31
	v_add_f16_e32 v43, v122, v126
	v_sub_f16_e32 v31, v31, v34
	v_sub_f16_e32 v34, v126, v122
	v_add_f16_e32 v106, v40, v37
	v_add_f16_e32 v107, v41, v38
	v_sub_f16_e32 v108, v40, v37
	v_sub_f16_e32 v109, v41, v38
	;; [unrolled: 1-line block ×6, first 2 shown]
	v_add_f16_e32 v116, v31, v32
	v_add_f16_e32 v117, v34, v33
	v_sub_f16_e32 v118, v31, v32
	v_sub_f16_e32 v119, v34, v33
	;; [unrolled: 1-line block ×4, first 2 shown]
	v_add_f16_e32 v42, v42, v106
	v_add_f16_e32 v43, v43, v107
	v_sub_f16_e32 v120, v36, v31
	v_sub_f16_e32 v34, v39, v34
	v_add_f16_e32 v106, v116, v36
	v_add_f16_e32 v107, v117, v39
	v_mul_f16_e32 v36, 0x3a52, v37
	v_mul_f16_e32 v37, 0x3a52, v38
	;; [unrolled: 1-line block ×8, first 2 shown]
	v_add_f16_e32 v31, v35, v42
	v_add_f16_e32 v33, v95, v43
	v_fmamk_f16 v35, v40, 0x2b26, v36
	v_fmamk_f16 v41, v41, 0x2b26, v37
	v_fma_f16 v95, v108, 0x39e0, -v38
	v_fma_f16 v123, v109, 0x39e0, -v39
	;; [unrolled: 1-line block ×4, first 2 shown]
	v_fmamk_f16 v36, v120, 0x3574, v116
	v_fmamk_f16 v37, v34, 0x3574, v117
	v_fma_f16 v32, v32, 0x3b00, -v116
	v_fma_f16 v116, v122, 0x3b00, -v117
	;; [unrolled: 1-line block ×4, first 2 shown]
	v_fmamk_f16 v34, v42, 0xbcab, v31
	v_fmamk_f16 v43, v43, 0xbcab, v33
	v_fmac_f16_e32 v36, 0x370e, v106
	v_fmac_f16_e32 v37, 0x370e, v107
	;; [unrolled: 1-line block ×6, first 2 shown]
	v_add_f16_e32 v40, v35, v34
	v_add_f16_e32 v95, v95, v34
	;; [unrolled: 1-line block ×6, first 2 shown]
	v_pack_b32_f16 v44, v131, v132
	v_sub_f16_e32 v34, v95, v116
	v_add_f16_e32 v35, v32, v106
	v_add_f16_e32 v120, v116, v95
	v_sub_f16_e32 v119, v106, v32
	v_sub_f16_e32 v32, v41, v38
	v_add_f16_e32 v116, v39, v43
	v_sub_f16_e32 v117, v40, v37
	v_add_f16_e32 v118, v36, v42
	v_pack_b32_f16 v93, v133, v134
	v_pack_b32_f16 v96, v135, v136
	ds_store_2addr_b32 v90, v121, v44 offset1:45
	ds_store_2addr_b32 v90, v93, v96 offset0:90 offset1:135
	ds_store_2addr_b32 v90, v97, v98 offset0:180 offset1:225
	ds_store_b32 v90, v104 offset:1080
	s_and_saveexec_b32 s1, s0
	s_cbranch_execz .LBB0_15
; %bb.14:
	v_sub_f16_e32 v36, v42, v36
	v_add_f16_e32 v37, v37, v40
	v_lshlrev_b32_e32 v40, 2, v67
	v_sub_f16_e32 v39, v43, v39
	v_add_f16_e32 v38, v38, v41
	v_perm_b32 v31, v33, v31, 0x5040100
	v_pack_b32_f16 v33, v37, v36
	v_add_nc_u32_e32 v36, 0x400, v40
	v_perm_b32 v41, v116, v32, 0x5040100
	v_pack_b32_f16 v37, v38, v39
	v_perm_b32 v38, v35, v34, 0x5040100
	v_perm_b32 v39, v119, v120, 0x5040100
	v_add_nc_u32_e32 v42, 0x600, v40
	v_perm_b32 v43, v118, v117, 0x5040100
	ds_store_2addr_b32 v36, v31, v33 offset0:59 offset1:104
	ds_store_2addr_b32 v36, v37, v38 offset0:149 offset1:194
	ds_store_2addr_b32 v42, v39, v41 offset0:111 offset1:156
	ds_store_b32 v40, v43 offset:2340
.LBB0_15:
	s_wait_alu 0xfffe
	s_or_b32 exec_lo, exec_lo, s1
	global_wb scope:SCOPE_SE
	s_wait_dscnt 0x0
	s_barrier_signal -1
	s_barrier_wait -1
	global_inv scope:SCOPE_SE
	s_clause 0x4
	global_load_b32 v93, v45, s[2:3] offset:1248
	global_load_b32 v95, v45, s[2:3] offset:1500
	;; [unrolled: 1-line block ×5, first 2 shown]
	v_add_nc_u32_e32 v123, 0x200, v45
	v_add_nc_u32_e32 v36, 0x400, v45
	;; [unrolled: 1-line block ×3, first 2 shown]
	ds_load_2addr_b32 v[37:38], v45 offset1:63
	ds_load_2addr_b32 v[39:40], v45 offset0:126 offset1:189
	ds_load_2addr_b32 v[41:42], v123 offset0:124 offset1:187
	ds_load_2addr_b32 v[43:44], v36 offset0:122 offset1:185
	ds_load_2addr_b32 v[121:122], v124 offset0:120 offset1:183
	s_add_nc_u64 s[2:3], s[16:17], 0x9d8
	s_wait_dscnt 0x4
	v_lshrrev_b32_e32 v125, 16, v37
	s_wait_dscnt 0x2
	v_lshrrev_b32_e32 v31, 16, v42
	;; [unrolled: 2-line block ×3, first 2 shown]
	v_lshrrev_b32_e32 v129, 16, v44
	s_wait_dscnt 0x0
	v_lshrrev_b32_e32 v130, 16, v121
	v_lshrrev_b32_e32 v132, 16, v122
	;; [unrolled: 1-line block ×6, first 2 shown]
	s_wait_loadcnt 0x4
	v_lshrrev_b32_e32 v109, 16, v93
	s_wait_loadcnt 0x3
	v_lshrrev_b32_e32 v108, 16, v95
	;; [unrolled: 2-line block ×5, first 2 shown]
	v_mul_f16_e64 v133, v31, v109
	v_mul_f16_e64 v134, v42, v109
	;; [unrolled: 1-line block ×10, first 2 shown]
	v_fma_f16 v42, v42, v93, -v133
	v_fmac_f16_e64 v134, v31, v93
	v_fma_f16 v31, v43, v95, -v135
	v_fmac_f16_e64 v136, v33, v95
	;; [unrolled: 2-line block ×5, first 2 shown]
	v_sub_f16_e32 v42, v37, v42
	v_sub_f16_e64 v121, v125, v134
	v_sub_f16_e32 v122, v38, v31
	v_sub_f16_e64 v129, v126, v136
	v_sub_f16_e64 v130, v39, v33
	;; [unrolled: 1-line block ×3, first 2 shown]
	v_sub_f16_e32 v43, v40, v43
	v_sub_f16_e64 v133, v128, v140
	v_sub_f16_e32 v33, v41, v44
	v_sub_f16_e64 v31, v131, v142
	v_fma_f16 v37, v37, 2.0, -v42
	v_fma_f16 v44, v125, 2.0, -v121
	;; [unrolled: 1-line block ×10, first 2 shown]
	v_pack_b32_f16 v42, v42, v121
	v_pack_b32_f16 v37, v37, v44
	;; [unrolled: 1-line block ×10, first 2 shown]
	ds_store_b32 v45, v42 offset:1260
	ds_store_2addr_b32 v45, v37, v38 offset1:63
	ds_store_2addr_b32 v36, v121, v122 offset0:122 offset1:185
	ds_store_2addr_b32 v45, v39, v40 offset0:126 offset1:189
	ds_store_b32 v45, v41 offset:1008
	ds_store_2addr_b32 v124, v43, v129 offset0:120 offset1:183
	global_wb scope:SCOPE_SE
	s_wait_dscnt 0x0
	s_barrier_signal -1
	s_barrier_wait -1
	global_inv scope:SCOPE_SE
	s_clause 0x8
	global_load_b32 v39, v[16:17], off offset:2520
	global_load_b32 v121, v45, s[2:3] offset:840
	global_load_b32 v122, v45, s[2:3] offset:252
	;; [unrolled: 1-line block ×8, first 2 shown]
	ds_load_2addr_b32 v[37:38], v45 offset1:63
	ds_load_b32 v131, v45 offset:2184
	s_wait_dscnt 0x1
	v_lshrrev_b32_e32 v40, 16, v37
	v_lshrrev_b32_e32 v132, 16, v38
	s_wait_dscnt 0x0
	v_lshrrev_b32_e32 v133, 16, v131
	s_wait_loadcnt 0x7
	v_lshrrev_b32_e32 v134, 16, v121
	s_wait_loadcnt 0x5
	;; [unrolled: 2-line block ×4, first 2 shown]
	v_lshrrev_b32_e32 v139, 16, v127
	v_lshrrev_b32_e32 v41, 16, v39
	v_mul_f16_e64 v138, v133, v135
	v_mul_f16_e64 v135, v131, v135
	s_delay_alu instid0(VALU_DEP_3) | instskip(SKIP_1) | instid1(VALU_DEP_3)
	v_mul_f16_e32 v42, v40, v41
	v_mul_f16_e32 v41, v37, v41
	v_fmac_f16_e64 v135, v133, v125
	s_delay_alu instid0(VALU_DEP_3) | instskip(NEXT) | instid1(VALU_DEP_3)
	v_fma_f16 v37, v37, v39, -v42
	v_fmac_f16_e32 v41, v40, v39
	s_delay_alu instid0(VALU_DEP_1)
	v_pack_b32_f16 v37, v37, v41
	ds_store_b32 v45, v37
	ds_load_2addr_b32 v[39:40], v45 offset0:126 offset1:210
	ds_load_2addr_b32 v[41:42], v36 offset0:164 offset1:227
	;; [unrolled: 1-line block ×3, first 2 shown]
	v_lshrrev_b32_e32 v37, 16, v122
	s_delay_alu instid0(VALU_DEP_1) | instskip(SKIP_1) | instid1(VALU_DEP_2)
	v_mul_f16_e64 v137, v132, v37
	v_mul_f16_e32 v37, v38, v37
	v_fma_f16 v38, v38, v122, -v137
	s_delay_alu instid0(VALU_DEP_2)
	v_fmac_f16_e64 v37, v132, v122
	v_fma_f16 v122, v131, v125, -v138
	s_wait_loadcnt 0x0
	v_lshrrev_b32_e32 v131, 16, v130
	v_lshrrev_b32_e32 v132, 16, v129
	;; [unrolled: 1-line block ×3, first 2 shown]
	v_pack_b32_f16 v37, v38, v37
	v_pack_b32_f16 v38, v122, v135
	s_wait_dscnt 0x2
	v_lshrrev_b32_e32 v122, 16, v40
	v_mul_f16_e64 v133, v40, v134
	s_wait_dscnt 0x1
	v_lshrrev_b32_e32 v135, 16, v41
	v_mul_f16_e64 v137, v41, v136
	s_wait_dscnt 0x0
	v_lshrrev_b32_e32 v138, 16, v43
	v_lshrrev_b32_e32 v143, 16, v39
	;; [unrolled: 1-line block ×4, first 2 shown]
	v_mul_f16_e64 v140, v43, v139
	v_mul_f16_e64 v134, v122, v134
	v_fmac_f16_e64 v133, v122, v121
	v_mul_f16_e64 v122, v135, v136
	v_fmac_f16_e64 v137, v135, v126
	v_mul_f16_e64 v135, v138, v139
	v_mul_f16_e64 v144, v39, v131
	;; [unrolled: 1-line block ×7, first 2 shown]
	v_fmac_f16_e64 v140, v138, v127
	v_fma_f16 v40, v40, v121, -v134
	v_fma_f16 v43, v43, v127, -v135
	v_fmac_f16_e64 v144, v143, v130
	v_fma_f16 v39, v39, v130, -v131
	v_fmac_f16_e64 v146, v145, v129
	v_fma_f16 v41, v41, v126, -v122
	v_fma_f16 v44, v44, v129, -v132
	v_fmac_f16_e64 v142, v141, v128
	v_fma_f16 v42, v42, v128, -v125
	v_pack_b32_f16 v40, v40, v133
	v_pack_b32_f16 v43, v43, v140
	;; [unrolled: 1-line block ×6, first 2 shown]
	ds_store_2addr_b32 v123, v40, v43 offset0:82 offset1:145
	ds_store_2addr_b32 v45, v37, v39 offset0:63 offset1:126
	;; [unrolled: 1-line block ×4, first 2 shown]
	s_and_saveexec_b32 s1, vcc_lo
	s_cbranch_execz .LBB0_17
; %bb.16:
	s_wait_alu 0xfffe
	v_add_co_u32 v37, s2, s2, v45
	s_wait_alu 0xf1ff
	v_add_co_ci_u32_e64 v38, null, s3, 0, s2
	v_add_nc_u32_e32 v42, 0x280, v45
	s_clause 0x2
	global_load_b32 v39, v[37:38], off offset:756
	global_load_b32 v40, v[37:38], off offset:1596
	;; [unrolled: 1-line block ×3, first 2 shown]
	ds_load_2addr_b32 v[37:38], v42 offset0:29 offset1:239
	ds_load_b32 v43, v45 offset:2436
	s_wait_dscnt 0x1
	v_lshrrev_b32_e32 v44, 16, v37
	v_lshrrev_b32_e32 v122, 16, v38
	s_wait_dscnt 0x0
	v_lshrrev_b32_e32 v124, 16, v43
	s_wait_loadcnt 0x2
	v_lshrrev_b32_e32 v121, 16, v39
	s_wait_loadcnt 0x1
	;; [unrolled: 2-line block ×3, first 2 shown]
	v_lshrrev_b32_e32 v125, 16, v41
	v_mul_f16_e32 v126, v44, v121
	v_mul_f16_e32 v121, v37, v121
	;; [unrolled: 1-line block ×4, first 2 shown]
	v_mul_f16_e64 v128, v124, v125
	v_mul_f16_e32 v125, v43, v125
	v_fma_f16 v37, v37, v39, -v126
	v_fmac_f16_e32 v121, v44, v39
	v_fma_f16 v38, v38, v40, -v127
	v_fmac_f16_e32 v123, v122, v40
	v_fma_f16 v39, v43, v41, -v128
	v_fmac_f16_e32 v125, v124, v41
	v_pack_b32_f16 v37, v37, v121
	s_delay_alu instid0(VALU_DEP_4) | instskip(NEXT) | instid1(VALU_DEP_3)
	v_pack_b32_f16 v38, v38, v123
	v_pack_b32_f16 v39, v39, v125
	ds_store_2addr_b32 v42, v37, v38 offset0:29 offset1:239
	ds_store_b32 v45, v39 offset:2436
.LBB0_17:
	s_wait_alu 0xfffe
	s_or_b32 exec_lo, exec_lo, s1
	global_wb scope:SCOPE_SE
	s_wait_dscnt 0x0
	s_barrier_signal -1
	s_barrier_wait -1
	global_inv scope:SCOPE_SE
	ds_load_2addr_b32 v[41:42], v45 offset1:63
	ds_load_2addr_b32 v[39:40], v45 offset0:126 offset1:210
	ds_load_2addr_b32 v[37:38], v36 offset0:164 offset1:227
	;; [unrolled: 1-line block ×3, first 2 shown]
	ds_load_b32 v121, v45 offset:2184
	s_and_saveexec_b32 s1, vcc_lo
	s_cbranch_execz .LBB0_19
; %bb.18:
	v_add_nc_u32_e32 v31, 0x280, v45
	ds_load_2addr_b32 v[33:34], v31 offset0:29 offset1:239
	ds_load_b32 v120, v45 offset:2436
	s_wait_dscnt 0x1
	v_lshrrev_b32_e32 v31, 16, v33
	v_lshrrev_b32_e32 v35, 16, v34
	s_wait_dscnt 0x0
	v_lshrrev_b32_e32 v119, 16, v120
.LBB0_19:
	s_wait_alu 0xfffe
	s_or_b32 exec_lo, exec_lo, s1
	v_add_f16_e32 v124, v34, v33
	s_wait_dscnt 0x3
	v_pk_add_f16 v122, v41, v40
	v_sub_f16_e32 v125, v35, v119
	v_add_f16_e32 v126, v35, v119
	v_add_f16_e64 v128, v35, v31
	v_add_f16_e32 v35, v120, v124
	s_wait_dscnt 0x2
	v_pk_add_f16 v124, v40, v37
	v_pk_add_f16 v40, v40, v37 neg_lo:[0,1] neg_hi:[0,1]
	v_add_f16_e32 v36, v34, v120
	v_fmac_f16_e32 v31, -0.5, v126
	v_sub_f16_e32 v120, v34, v120
	v_pk_fma_f16 v41, v124, 0.5, v41 op_sel_hi:[1,0,1] neg_lo:[1,0,0] neg_hi:[1,0,0]
	v_pk_mul_f16 v40, 0x3aee, v40 op_sel_hi:[0,1]
	s_wait_dscnt 0x1
	v_pk_add_f16 v123, v42, v43
	v_pk_add_f16 v124, v43, v38
	v_pk_add_f16 v43, v43, v38 neg_lo:[0,1] neg_hi:[0,1]
	v_pk_add_f16 v127, v39, v44
	v_add_f16_e64 v34, v119, v128
	v_fmamk_f16 v119, v120, 0x3aee, v31
	v_fmac_f16_e32 v31, 0xbaee, v120
	v_pk_add_f16 v120, v41, v40 op_sel:[0,1] op_sel_hi:[1,0] neg_lo:[0,1] neg_hi:[0,1]
	v_pk_add_f16 v40, v41, v40 op_sel:[0,1] op_sel_hi:[1,0]
	s_wait_dscnt 0x0
	v_pk_add_f16 v41, v44, v121
	v_pk_add_f16 v44, v44, v121 neg_lo:[0,1] neg_hi:[0,1]
	v_pk_fma_f16 v42, v124, 0.5, v42 op_sel_hi:[1,0,1] neg_lo:[1,0,0] neg_hi:[1,0,0]
	v_pk_mul_f16 v43, 0x3aee, v43 op_sel_hi:[0,1]
	v_fmac_f16_e32 v33, -0.5, v36
	v_pk_fma_f16 v39, v41, 0.5, v39 op_sel_hi:[1,0,1] neg_lo:[1,0,0] neg_hi:[1,0,0]
	v_pk_mul_f16 v41, 0x3aee, v44 op_sel_hi:[0,1]
	v_pk_add_f16 v37, v122, v37
	v_pk_add_f16 v122, v42, v43 op_sel:[0,1] op_sel_hi:[1,0] neg_lo:[0,1] neg_hi:[0,1]
	v_pk_add_f16 v42, v42, v43 op_sel:[0,1] op_sel_hi:[1,0]
	v_fmamk_f16 v36, v125, 0xbaee, v33
	v_pk_add_f16 v43, v39, v41 op_sel:[0,1] op_sel_hi:[1,0] neg_lo:[0,1] neg_hi:[0,1]
	v_pk_add_f16 v39, v39, v41 op_sel:[0,1] op_sel_hi:[1,0]
	v_fmac_f16_e32 v33, 0x3aee, v125
	v_bfi_b32 v44, 0xffff, v120, v40
	v_bfi_b32 v40, 0xffff, v40, v120
	v_pk_add_f16 v38, v123, v38
	v_bfi_b32 v41, 0xffff, v122, v42
	v_bfi_b32 v42, 0xffff, v42, v122
	v_pk_add_f16 v120, v127, v121
	v_bfi_b32 v121, 0xffff, v43, v39
	global_wb scope:SCOPE_SE
	s_barrier_signal -1
	s_barrier_wait -1
	global_inv scope:SCOPE_SE
	v_bfi_b32 v39, 0xffff, v39, v43
	ds_store_2addr_b32 v66, v37, v44 offset1:1
	ds_store_b32 v66, v40 offset:8
	ds_store_2addr_b32 v68, v38, v41 offset1:1
	ds_store_b32 v68, v42 offset:8
	ds_store_2addr_b32 v70, v120, v121 offset1:1
	ds_store_b32 v70, v39 offset:8
	s_and_saveexec_b32 s1, vcc_lo
	s_cbranch_execz .LBB0_21
; %bb.20:
	v_lshlrev_b32_e32 v37, 2, v69
	v_perm_b32 v38, v119, v36, 0x5040100
	v_perm_b32 v39, v34, v35, 0x5040100
	;; [unrolled: 1-line block ×3, first 2 shown]
	ds_store_2addr_b32 v37, v39, v38 offset1:1
	ds_store_b32 v37, v40 offset:8
.LBB0_21:
	s_wait_alu 0xfffe
	s_or_b32 exec_lo, exec_lo, s1
	v_add_nc_u32_e32 v41, 0x400, v45
	global_wb scope:SCOPE_SE
	s_wait_dscnt 0x0
	s_barrier_signal -1
	s_barrier_wait -1
	global_inv scope:SCOPE_SE
	ds_load_2addr_b32 v[39:40], v45 offset1:63
	ds_load_2addr_b32 v[37:38], v45 offset0:126 offset1:210
	ds_load_2addr_b32 v[43:44], v41 offset0:164 offset1:227
	;; [unrolled: 1-line block ×3, first 2 shown]
	ds_load_b32 v66, v45 offset:2184
	s_and_saveexec_b32 s1, vcc_lo
	s_cbranch_execz .LBB0_23
; %bb.22:
	v_add_nc_u32_e32 v31, 0x280, v45
	ds_load_2addr_b32 v[35:36], v31 offset0:29 offset1:239
	ds_load_b32 v33, v45 offset:2436
	s_wait_dscnt 0x1
	v_lshrrev_b32_e32 v34, 16, v35
	v_lshrrev_b32_e32 v119, 16, v36
	s_wait_dscnt 0x0
	v_lshrrev_b32_e32 v31, 16, v33
.LBB0_23:
	s_wait_alu 0xfffe
	s_or_b32 exec_lo, exec_lo, s1
	s_wait_dscnt 0x3
	v_lshrrev_b32_e32 v69, 16, v38
	s_wait_dscnt 0x2
	v_lshrrev_b32_e32 v70, 16, v43
	;; [unrolled: 2-line block ×3, first 2 shown]
	v_lshrrev_b32_e32 v122, 16, v44
	v_lshrrev_b32_e32 v124, 16, v42
	v_mul_f16_e32 v125, v84, v69
	v_mul_f16_e32 v84, v84, v38
	;; [unrolled: 1-line block ×4, first 2 shown]
	s_wait_dscnt 0x0
	v_lshrrev_b32_e32 v127, 16, v66
	v_fmac_f16_e32 v125, v25, v38
	v_fma_f16 v38, v25, v69, -v84
	v_fmac_f16_e32 v126, v26, v43
	v_mul_f16_e32 v43, v82, v121
	v_mul_f16_e32 v69, v81, v122
	v_fma_f16 v26, v26, v70, -v83
	v_mul_f16_e32 v25, v82, v41
	v_mul_f16_e32 v70, v81, v44
	v_fmac_f16_e32 v43, v23, v41
	v_mul_f16_e32 v41, v80, v124
	v_fmac_f16_e32 v69, v24, v44
	v_mul_f16_e32 v44, v80, v42
	v_fma_f16 v23, v23, v121, -v25
	v_fma_f16 v24, v24, v122, -v70
	v_fmac_f16_e32 v41, v21, v42
	v_mul_f16_e32 v42, v79, v127
	v_mul_f16_e32 v70, v79, v66
	;; [unrolled: 1-line block ×3, first 2 shown]
	v_fma_f16 v44, v21, v124, -v44
	v_mul_f16_e32 v21, v78, v36
	v_fmac_f16_e32 v42, v22, v66
	v_fma_f16 v66, v22, v127, -v70
	v_fmac_f16_e32 v25, v19, v36
	v_add_f16_e32 v22, v125, v126
	v_fma_f16 v21, v19, v119, -v21
	v_mul_f16_e32 v19, v77, v31
	v_mul_f16_e32 v36, v77, v33
	v_lshrrev_b32_e32 v68, 16, v39
	v_add_f16_e32 v70, v39, v125
	v_fma_f16 v39, -0.5, v22, v39
	v_fmac_f16_e32 v19, v20, v33
	v_fma_f16 v22, v20, v31, -v36
	v_add_f16_e32 v20, v38, v26
	v_add_f16_e32 v31, v68, v38
	v_lshrrev_b32_e32 v120, 16, v40
	v_sub_f16_e32 v77, v38, v26
	v_add_f16_e32 v38, v43, v69
	v_fmac_f16_e32 v68, -0.5, v20
	v_sub_f16_e32 v20, v125, v126
	v_add_f16_e32 v33, v70, v126
	v_add_f16_e32 v26, v31, v26
	;; [unrolled: 1-line block ×3, first 2 shown]
	v_fmac_f16_e32 v40, -0.5, v38
	v_fmamk_f16 v70, v20, 0x3aee, v68
	v_fmac_f16_e32 v68, 0xbaee, v20
	v_add_f16_e32 v20, v23, v24
	v_sub_f16_e32 v38, v23, v24
	v_add_f16_e32 v23, v120, v23
	v_lshrrev_b32_e32 v123, 16, v37
	v_fmamk_f16 v36, v77, 0xbaee, v39
	v_fmac_f16_e32 v39, 0x3aee, v77
	v_add_f16_e32 v77, v31, v69
	v_add_f16_e32 v31, v41, v42
	v_fmac_f16_e32 v120, -0.5, v20
	v_sub_f16_e32 v20, v43, v69
	v_fmamk_f16 v78, v38, 0xbaee, v40
	v_fmac_f16_e32 v40, 0x3aee, v38
	v_add_f16_e32 v38, v23, v24
	v_add_f16_e32 v23, v37, v41
	v_fmac_f16_e32 v37, -0.5, v31
	v_sub_f16_e32 v24, v44, v66
	v_fmamk_f16 v43, v20, 0x3aee, v120
	v_fmac_f16_e32 v120, 0xbaee, v20
	v_add_f16_e32 v20, v123, v44
	v_add_f16_e32 v69, v23, v42
	;; [unrolled: 1-line block ×3, first 2 shown]
	v_fmamk_f16 v79, v24, 0xbaee, v37
	v_fmac_f16_e32 v37, 0x3aee, v24
	v_add_f16_e32 v24, v25, v19
	v_add_f16_e32 v44, v20, v66
	;; [unrolled: 1-line block ×3, first 2 shown]
	v_fmac_f16_e32 v123, -0.5, v23
	v_sub_f16_e32 v41, v41, v42
	v_fma_f16 v31, -0.5, v24, v35
	v_sub_f16_e32 v24, v21, v22
	v_fma_f16 v23, -0.5, v20, v34
	v_sub_f16_e32 v42, v25, v19
	v_pack_b32_f16 v26, v33, v26
	v_pack_b32_f16 v33, v36, v70
	v_fmamk_f16 v66, v41, 0x3aee, v123
	v_fmac_f16_e32 v123, 0xbaee, v41
	v_fmamk_f16 v20, v24, 0xbaee, v31
	v_fmac_f16_e32 v31, 0x3aee, v24
	;; [unrolled: 2-line block ×3, first 2 shown]
	global_wb scope:SCOPE_SE
	s_barrier_signal -1
	s_barrier_wait -1
	global_inv scope:SCOPE_SE
	ds_store_2addr_b32 v74, v26, v33 offset1:3
	v_pack_b32_f16 v26, v39, v68
	v_pack_b32_f16 v33, v77, v38
	;; [unrolled: 1-line block ×7, first 2 shown]
	ds_store_b32 v74, v26 offset:24
	ds_store_2addr_b32 v73, v33, v36 offset1:3
	ds_store_b32 v73, v38 offset:24
	ds_store_2addr_b32 v72, v39, v40 offset1:3
	ds_store_b32 v72, v37 offset:24
	s_and_saveexec_b32 s1, vcc_lo
	s_cbranch_execz .LBB0_25
; %bb.24:
	v_add_f16_e32 v21, v21, v34
	v_add_f16_e32 v25, v25, v35
	v_mul_u32_u24_e32 v26, 9, v71
	s_delay_alu instid0(VALU_DEP_3) | instskip(NEXT) | instid1(VALU_DEP_3)
	v_add_f16_e32 v21, v22, v21
	v_add_f16_e32 v19, v25, v19
	v_perm_b32 v22, v24, v20, 0x5040100
	s_delay_alu instid0(VALU_DEP_4) | instskip(NEXT) | instid1(VALU_DEP_3)
	v_add_lshl_u32 v25, v26, v65, 2
	v_pack_b32_f16 v19, v19, v21
	v_perm_b32 v21, v23, v31, 0x5040100
	ds_store_2addr_b32 v25, v19, v22 offset1:3
	ds_store_b32 v25, v21 offset:24
.LBB0_25:
	s_wait_alu 0xfffe
	s_or_b32 exec_lo, exec_lo, s1
	global_wb scope:SCOPE_SE
	s_wait_dscnt 0x0
	s_barrier_signal -1
	s_barrier_wait -1
	global_inv scope:SCOPE_SE
	ds_load_2addr_b32 v[21:22], v45 offset1:63
	ds_load_2addr_b32 v[34:35], v45 offset0:126 offset1:189
	v_add_nc_u32_e32 v33, 0x200, v45
	v_add_nc_u32_e32 v42, 0x400, v45
	v_add_nc_u32_e32 v26, 0x600, v45
	ds_load_2addr_b32 v[36:37], v33 offset0:124 offset1:187
	ds_load_2addr_b32 v[38:39], v42 offset0:122 offset1:185
	;; [unrolled: 1-line block ×3, first 2 shown]
	global_wb scope:SCOPE_SE
	s_wait_dscnt 0x0
	s_barrier_signal -1
	s_barrier_wait -1
	global_inv scope:SCOPE_SE
	v_lshrrev_b32_e32 v43, 16, v21
	v_lshrrev_b32_e32 v19, 16, v34
	v_mul_f16_e32 v65, v94, v34
	v_lshrrev_b32_e32 v44, 16, v35
	v_lshrrev_b32_e32 v25, 16, v22
	;; [unrolled: 1-line block ×4, first 2 shown]
	v_mul_f16_e32 v72, v94, v19
	v_lshrrev_b32_e32 v69, 16, v40
	v_fma_f16 v19, v8, v19, -v65
	v_mul_f16_e32 v65, v91, v36
	v_mul_f16_e32 v74, v92, v38
	v_fmac_f16_e32 v72, v8, v34
	v_mul_f16_e32 v8, v91, v66
	v_mul_f16_e32 v34, v92, v68
	v_lshrrev_b32_e32 v70, 16, v37
	v_mul_f16_e32 v77, v89, v69
	v_fma_f16 v65, v9, v66, -v65
	v_fma_f16 v66, v10, v68, -v74
	v_fmac_f16_e32 v8, v9, v36
	v_fmac_f16_e32 v34, v10, v38
	v_mul_f16_e32 v9, v89, v40
	v_mul_f16_e32 v36, v88, v44
	;; [unrolled: 1-line block ×3, first 2 shown]
	v_lshrrev_b32_e32 v71, 16, v39
	v_lshrrev_b32_e32 v73, 16, v41
	v_fmac_f16_e32 v77, v11, v40
	v_mul_f16_e32 v38, v87, v70
	v_mul_f16_e32 v40, v87, v37
	v_fma_f16 v9, v11, v69, -v9
	v_fmac_f16_e32 v36, v0, v35
	v_fma_f16 v0, v0, v44, -v10
	v_add_f16_e32 v10, v8, v34
	v_fmac_f16_e32 v38, v1, v37
	v_fma_f16 v1, v1, v70, -v40
	v_mul_f16_e32 v11, v86, v71
	v_mul_f16_e32 v35, v86, v39
	;; [unrolled: 1-line block ×3, first 2 shown]
	v_add_f16_e32 v40, v21, v72
	v_fma_f16 v44, -0.5, v10, v21
	v_sub_f16_e32 v10, v19, v9
	v_sub_f16_e32 v68, v72, v8
	;; [unrolled: 1-line block ×3, first 2 shown]
	v_add_f16_e32 v70, v72, v77
	v_fmac_f16_e32 v11, v2, v39
	v_fma_f16 v2, v2, v71, -v35
	v_fmac_f16_e32 v37, v3, v41
	v_add_f16_e32 v35, v40, v8
	v_fmamk_f16 v39, v10, 0xbb9c, v44
	v_sub_f16_e32 v40, v65, v66
	v_mul_f16_e32 v41, v85, v41
	v_add_f16_e32 v68, v68, v69
	v_fma_f16 v69, -0.5, v70, v21
	v_fmac_f16_e32 v44, 0x3b9c, v10
	v_add_f16_e32 v71, v43, v19
	v_fmac_f16_e32 v39, 0xb8b4, v40
	v_fma_f16 v3, v3, v73, -v41
	v_fmamk_f16 v41, v40, 0x3b9c, v69
	v_sub_f16_e32 v21, v8, v72
	v_sub_f16_e32 v70, v34, v77
	v_fmac_f16_e32 v44, 0x38b4, v40
	v_add_f16_e32 v73, v65, v66
	v_fmac_f16_e32 v69, 0xbb9c, v40
	v_add_f16_e32 v40, v71, v65
	v_fmac_f16_e32 v39, 0x34f2, v68
	v_fmac_f16_e32 v41, 0xb8b4, v10
	v_add_f16_e32 v21, v21, v70
	v_fma_f16 v70, -0.5, v73, v43
	v_sub_f16_e32 v71, v72, v77
	v_fmac_f16_e32 v44, 0x34f2, v68
	v_fmac_f16_e32 v69, 0x38b4, v10
	v_add_f16_e32 v10, v40, v66
	v_add_f16_e32 v68, v19, v9
	;; [unrolled: 1-line block ×3, first 2 shown]
	v_fmac_f16_e32 v41, 0x34f2, v21
	v_fmamk_f16 v40, v71, 0x3b9c, v70
	v_sub_f16_e32 v8, v8, v34
	v_sub_f16_e32 v34, v19, v65
	;; [unrolled: 1-line block ×3, first 2 shown]
	v_fmac_f16_e32 v69, 0x34f2, v21
	v_fmac_f16_e32 v43, -0.5, v68
	v_add_f16_e32 v68, v10, v9
	v_fmac_f16_e32 v70, 0xbb9c, v71
	v_sub_f16_e32 v19, v65, v19
	v_sub_f16_e32 v9, v66, v9
	v_add_f16_e32 v21, v38, v11
	v_fmac_f16_e32 v40, 0x38b4, v8
	v_add_f16_e32 v10, v34, v72
	v_fmamk_f16 v34, v8, 0xbb9c, v43
	v_fmac_f16_e32 v70, 0xb8b4, v8
	v_add_f16_e32 v9, v19, v9
	v_fmac_f16_e32 v43, 0x3b9c, v8
	v_fma_f16 v19, -0.5, v21, v22
	v_sub_f16_e32 v65, v0, v3
	v_fmac_f16_e32 v40, 0x34f2, v10
	v_fmac_f16_e32 v34, 0x38b4, v71
	v_add_f16_e32 v8, v22, v36
	v_fmac_f16_e32 v70, 0x34f2, v10
	v_fmac_f16_e32 v43, 0xb8b4, v71
	v_fmamk_f16 v66, v65, 0xbb9c, v19
	v_sub_f16_e32 v10, v1, v2
	v_sub_f16_e32 v21, v36, v38
	;; [unrolled: 1-line block ×3, first 2 shown]
	v_fmac_f16_e32 v19, 0x3b9c, v65
	v_add_f16_e32 v72, v36, v37
	v_fmac_f16_e32 v34, 0x34f2, v9
	v_add_f16_e32 v8, v8, v38
	;; [unrolled: 2-line block ×3, first 2 shown]
	v_fmac_f16_e32 v19, 0x38b4, v10
	v_fmac_f16_e32 v22, -0.5, v72
	v_fmac_f16_e32 v43, 0x34f2, v9
	v_add_f16_e32 v9, v1, v2
	v_sub_f16_e32 v71, v38, v36
	v_sub_f16_e32 v72, v11, v37
	v_add_f16_e32 v8, v8, v11
	v_fmac_f16_e32 v66, 0x34f2, v21
	v_fmac_f16_e32 v19, 0x34f2, v21
	v_fmamk_f16 v21, v10, 0x3b9c, v22
	v_fmac_f16_e32 v22, 0xbb9c, v10
	v_add_f16_e32 v73, v25, v0
	v_fma_f16 v10, -0.5, v9, v25
	v_sub_f16_e32 v9, v36, v37
	v_add_f16_e32 v36, v71, v72
	v_add_f16_e32 v71, v0, v3
	;; [unrolled: 1-line block ×3, first 2 shown]
	v_fmac_f16_e32 v21, 0xb8b4, v65
	v_fmac_f16_e32 v22, 0x38b4, v65
	v_add_f16_e32 v37, v73, v1
	v_sub_f16_e32 v38, v38, v11
	v_fmac_f16_e32 v25, -0.5, v71
	v_fmamk_f16 v65, v9, 0x3b9c, v10
	v_fmac_f16_e32 v21, 0x34f2, v36
	v_fmac_f16_e32 v22, 0x34f2, v36
	v_add_f16_e32 v36, v37, v2
	v_sub_f16_e32 v37, v0, v1
	v_sub_f16_e32 v71, v3, v2
	v_fmac_f16_e32 v10, 0xbb9c, v9
	v_fmamk_f16 v11, v38, 0xbb9c, v25
	v_sub_f16_e32 v0, v1, v0
	v_sub_f16_e32 v1, v2, v3
	v_fmac_f16_e32 v25, 0x3b9c, v38
	v_add_f16_e32 v35, v35, v77
	v_fmac_f16_e32 v65, 0x38b4, v38
	v_add_f16_e32 v2, v37, v71
	v_fmac_f16_e32 v10, 0xb8b4, v38
	v_fmac_f16_e32 v11, 0x38b4, v9
	v_add_f16_e32 v0, v0, v1
	v_fmac_f16_e32 v25, 0xb8b4, v9
	v_fmac_f16_e32 v65, 0x34f2, v2
	;; [unrolled: 1-line block ×3, first 2 shown]
	v_pack_b32_f16 v2, v39, v40
	v_fmac_f16_e32 v11, 0x34f2, v0
	v_fmac_f16_e32 v25, 0x34f2, v0
	v_pack_b32_f16 v0, v35, v68
	v_add_f16_e32 v1, v36, v3
	v_pack_b32_f16 v3, v44, v70
	v_pack_b32_f16 v9, v21, v11
	;; [unrolled: 1-line block ×3, first 2 shown]
	ds_store_2addr_b32 v76, v0, v2 offset1:9
	v_pack_b32_f16 v0, v41, v34
	v_pack_b32_f16 v2, v69, v43
	;; [unrolled: 1-line block ×5, first 2 shown]
	ds_store_2addr_b32 v76, v0, v2 offset0:18 offset1:27
	ds_store_b32 v76, v3 offset:144
	ds_store_2addr_b32 v75, v1, v8 offset1:9
	ds_store_2addr_b32 v75, v9, v34 offset0:18 offset1:27
	ds_store_b32 v75, v35 offset:144
	global_wb scope:SCOPE_SE
	s_wait_dscnt 0x0
	s_barrier_signal -1
	s_barrier_wait -1
	global_inv scope:SCOPE_SE
	ds_load_2addr_b32 v[0:1], v45 offset1:90
	ds_load_2addr_b32 v[8:9], v33 offset0:52 offset1:142
	ds_load_2addr_b32 v[2:3], v42 offset0:104 offset1:194
	ds_load_b32 v34, v45 offset:2160
	s_and_saveexec_b32 s1, s0
	s_cbranch_execz .LBB0_27
; %bb.26:
	ds_load_2addr_b32 v[21:22], v45 offset0:63 offset1:153
	ds_load_2addr_b32 v[19:20], v33 offset0:115 offset1:205
	;; [unrolled: 1-line block ×3, first 2 shown]
	ds_load_b32 v117, v45 offset:2412
	s_wait_dscnt 0x3
	v_lshrrev_b32_e32 v11, 16, v21
	v_lshrrev_b32_e32 v25, 16, v22
	s_wait_dscnt 0x2
	v_lshrrev_b32_e32 v10, 16, v19
	v_lshrrev_b32_e32 v24, 16, v20
	;; [unrolled: 3-line block ×3, first 2 shown]
	s_wait_dscnt 0x0
	v_lshrrev_b32_e32 v118, 16, v117
.LBB0_27:
	s_wait_alu 0xfffe
	s_or_b32 exec_lo, exec_lo, s1
	s_wait_dscnt 0x3
	v_lshrrev_b32_e32 v26, 16, v1
	s_wait_dscnt 0x2
	v_lshrrev_b32_e32 v35, 16, v8
	v_lshrrev_b32_e32 v36, 16, v9
	v_mul_f16_e32 v37, v115, v1
	s_wait_dscnt 0x1
	v_lshrrev_b32_e32 v39, 16, v2
	v_mul_f16_e32 v38, v115, v26
	v_lshrrev_b32_e32 v40, 16, v3
	s_wait_dscnt 0x0
	v_lshrrev_b32_e32 v41, 16, v34
	v_fma_f16 v26, v12, v26, -v37
	v_mul_f16_e32 v37, v113, v36
	v_fmac_f16_e32 v38, v12, v1
	v_mul_f16_e32 v1, v114, v35
	v_mul_f16_e32 v12, v114, v8
	;; [unrolled: 1-line block ×4, first 2 shown]
	v_fmac_f16_e32 v37, v14, v9
	v_fmac_f16_e32 v1, v13, v8
	v_fma_f16 v8, v13, v35, -v12
	v_fma_f16 v9, v14, v36, -v42
	v_mul_f16_e32 v12, v112, v41
	v_mul_f16_e32 v13, v112, v34
	;; [unrolled: 1-line block ×4, first 2 shown]
	v_fmac_f16_e32 v43, v15, v2
	v_mul_f16_e32 v2, v111, v2
	v_fmac_f16_e32 v12, v30, v34
	v_fma_f16 v13, v30, v41, -v13
	v_fmac_f16_e32 v14, v29, v3
	v_fma_f16 v3, v29, v40, -v35
	v_fma_f16 v2, v15, v39, -v2
	v_add_f16_e32 v15, v38, v12
	v_add_f16_e32 v29, v26, v13
	v_sub_f16_e32 v13, v26, v13
	v_add_f16_e32 v26, v1, v14
	v_add_f16_e32 v30, v8, v3
	v_sub_f16_e32 v1, v1, v14
	v_sub_f16_e32 v3, v8, v3
	v_add_f16_e32 v8, v37, v43
	v_add_f16_e32 v14, v9, v2
	v_sub_f16_e32 v34, v43, v37
	;; [unrolled: 4-line block ×3, first 2 shown]
	v_lshrrev_b32_e32 v33, 16, v0
	v_sub_f16_e32 v36, v26, v15
	v_sub_f16_e32 v37, v30, v29
	;; [unrolled: 1-line block ×6, first 2 shown]
	v_add_f16_e32 v38, v34, v1
	v_add_f16_e32 v39, v2, v3
	v_sub_f16_e32 v40, v34, v1
	v_sub_f16_e32 v41, v2, v3
	v_add_f16_e32 v8, v8, v9
	v_add_f16_e32 v9, v14, v35
	v_sub_f16_e32 v1, v1, v12
	v_sub_f16_e32 v3, v3, v13
	;; [unrolled: 1-line block ×4, first 2 shown]
	v_add_f16_e32 v12, v38, v12
	v_add_f16_e32 v13, v39, v13
	;; [unrolled: 1-line block ×4, first 2 shown]
	v_mul_f16_e32 v15, 0x3a52, v15
	v_mul_f16_e32 v29, 0x3a52, v29
	;; [unrolled: 1-line block ×8, first 2 shown]
	v_fmamk_f16 v8, v8, 0xbcab, v0
	v_fmamk_f16 v9, v9, 0xbcab, v14
	v_fmamk_f16 v26, v26, 0x2b26, v15
	v_fmamk_f16 v30, v30, 0x2b26, v29
	v_fma_f16 v33, v36, 0x39e0, -v33
	v_fma_f16 v35, v37, 0x39e0, -v35
	;; [unrolled: 1-line block ×4, first 2 shown]
	v_fmamk_f16 v36, v34, 0xb574, v38
	v_fmamk_f16 v37, v2, 0xb574, v39
	v_fma_f16 v1, v1, 0xbb00, -v38
	v_fma_f16 v3, v3, 0xbb00, -v39
	;; [unrolled: 1-line block ×4, first 2 shown]
	v_add_f16_e32 v26, v26, v8
	v_add_f16_e32 v30, v30, v9
	v_fmac_f16_e32 v36, 0xb70e, v12
	v_fmac_f16_e32 v37, 0xb70e, v13
	v_add_f16_e32 v33, v33, v8
	v_add_f16_e32 v35, v35, v9
	;; [unrolled: 1-line block ×4, first 2 shown]
	v_fmac_f16_e32 v1, 0xb70e, v12
	v_fmac_f16_e32 v2, 0xb70e, v13
	;; [unrolled: 1-line block ×4, first 2 shown]
	v_add_f16_e32 v12, v37, v26
	v_sub_f16_e32 v13, v30, v36
	v_add_f16_e32 v15, v2, v8
	v_sub_f16_e32 v29, v9, v34
	v_sub_f16_e32 v38, v33, v3
	v_add_f16_e32 v39, v1, v35
	v_add_f16_e32 v3, v3, v33
	v_sub_f16_e32 v1, v35, v1
	v_sub_f16_e32 v2, v8, v2
	v_add_f16_e32 v8, v34, v9
	v_sub_f16_e32 v9, v26, v37
	v_add_f16_e32 v26, v36, v30
	v_pack_b32_f16 v0, v0, v14
	v_pack_b32_f16 v12, v12, v13
	;; [unrolled: 1-line block ×7, first 2 shown]
	global_wb scope:SCOPE_SE
	s_barrier_signal -1
	s_barrier_wait -1
	global_inv scope:SCOPE_SE
	ds_store_2addr_b32 v90, v0, v12 offset1:45
	ds_store_2addr_b32 v90, v13, v14 offset0:90 offset1:135
	ds_store_2addr_b32 v90, v1, v2 offset0:180 offset1:225
	ds_store_b32 v90, v3 offset:1080
	s_and_saveexec_b32 s1, s0
	s_cbranch_execz .LBB0_29
; %bb.28:
	v_mul_f16_e32 v0, v103, v25
	v_mul_f16_e32 v1, v100, v23
	;; [unrolled: 1-line block ×6, first 2 shown]
	v_fmac_f16_e32 v1, v7, v31
	v_fmac_f16_e32 v2, v6, v20
	;; [unrolled: 1-line block ×6, first 2 shown]
	v_mul_f16_e32 v14, v105, v117
	v_mul_f16_e32 v22, v103, v22
	;; [unrolled: 1-line block ×4, first 2 shown]
	v_sub_f16_e32 v12, v1, v2
	v_sub_f16_e32 v13, v3, v8
	;; [unrolled: 1-line block ×3, first 2 shown]
	v_fma_f16 v14, v28, v118, -v14
	v_fma_f16 v4, v4, v25, -v22
	v_mul_f16_e32 v20, v99, v20
	v_mul_f16_e32 v22, v100, v31
	v_fma_f16 v25, v27, v116, -v29
	v_fma_f16 v5, v5, v10, -v19
	v_sub_f16_e32 v26, v12, v13
	v_sub_f16_e32 v28, v15, v12
	v_add_f16_e32 v10, v12, v13
	v_add_f16_e32 v12, v14, v4
	v_fma_f16 v6, v6, v24, -v20
	v_fma_f16 v7, v7, v23, -v22
	v_add_f16_e32 v19, v25, v5
	v_add_f16_e32 v0, v9, v0
	;; [unrolled: 1-line block ×6, first 2 shown]
	v_sub_f16_e32 v6, v7, v6
	v_sub_f16_e32 v5, v5, v25
	;; [unrolled: 1-line block ×4, first 2 shown]
	v_add_f16_e32 v23, v22, v23
	v_sub_f16_e32 v8, v22, v19
	v_sub_f16_e32 v14, v6, v5
	;; [unrolled: 1-line block ×3, first 2 shown]
	v_mul_f16_e32 v9, 0x3a52, v24
	v_add_f16_e32 v2, v11, v23
	v_add_f16_e32 v11, v3, v0
	v_sub_f16_e32 v24, v0, v1
	v_sub_f16_e32 v25, v4, v6
	v_add_f16_e32 v6, v6, v5
	v_sub_f16_e32 v12, v19, v12
	v_add_f16_e32 v11, v1, v11
	v_mul_f16_e32 v7, 0x3a52, v24
	v_sub_f16_e32 v1, v1, v3
	v_sub_f16_e32 v0, v3, v0
	;; [unrolled: 1-line block ×3, first 2 shown]
	v_add_f16_e32 v21, v21, v11
	v_mul_f16_e32 v26, 0x3846, v26
	v_mul_f16_e32 v22, 0x2b26, v8
	v_fmamk_f16 v24, v1, 0x2b26, v7
	v_mul_f16_e32 v14, 0x3846, v14
	v_fmamk_f16 v11, v11, 0xbcab, v21
	;; [unrolled: 2-line block ×3, first 2 shown]
	v_mul_f16_e32 v1, 0x2b26, v1
	v_add_f16_e32 v4, v6, v4
	v_fma_f16 v6, v12, 0xb9e0, -v9
	v_mul_f16_e32 v9, 0xbb00, v3
	v_fmamk_f16 v20, v28, 0xb574, v26
	v_add_f16_e32 v10, v10, v15
	v_fmamk_f16 v23, v23, 0xbcab, v2
	v_add_f16_e32 v15, v24, v11
	v_fmamk_f16 v24, v25, 0xb574, v14
	v_fma_f16 v5, v28, 0x3574, -v29
	v_fma_f16 v12, v12, 0x39e0, -v22
	;; [unrolled: 1-line block ×7, first 2 shown]
	v_fmac_f16_e32 v20, 0xb70e, v10
	v_add_f16_e32 v8, v8, v23
	v_fmac_f16_e32 v24, 0xb70e, v4
	v_fmac_f16_e32 v5, 0xb70e, v10
	v_add_f16_e32 v6, v6, v23
	v_add_f16_e32 v1, v12, v23
	v_fmac_f16_e32 v13, 0xb70e, v10
	v_add_f16_e32 v7, v7, v11
	v_fmac_f16_e32 v9, 0xb70e, v4
	v_fmac_f16_e32 v3, 0xb70e, v4
	v_add_f16_e32 v0, v0, v11
	v_add_f16_e32 v27, v20, v8
	;; [unrolled: 1-line block ×3, first 2 shown]
	v_sub_f16_e32 v12, v1, v13
	v_add_f16_e32 v1, v13, v1
	v_sub_f16_e32 v5, v6, v5
	v_sub_f16_e32 v6, v8, v20
	v_add_f16_e32 v8, v24, v15
	v_lshlrev_b32_e32 v13, 2, v67
	v_sub_f16_e32 v11, v7, v9
	v_add_f16_e32 v14, v3, v0
	v_add_f16_e32 v7, v9, v7
	v_sub_f16_e32 v0, v0, v3
	v_sub_f16_e32 v4, v15, v24
	v_pack_b32_f16 v2, v21, v2
	v_pack_b32_f16 v3, v8, v6
	v_add_nc_u32_e32 v6, 0x400, v13
	v_pack_b32_f16 v5, v7, v5
	v_pack_b32_f16 v0, v0, v1
	;; [unrolled: 1-line block ×4, first 2 shown]
	v_add_nc_u32_e32 v8, 0x600, v13
	v_pack_b32_f16 v4, v4, v27
	ds_store_2addr_b32 v6, v2, v3 offset0:59 offset1:104
	ds_store_2addr_b32 v6, v5, v0 offset0:149 offset1:194
	;; [unrolled: 1-line block ×3, first 2 shown]
	ds_store_b32 v13, v4 offset:2340
.LBB0_29:
	s_wait_alu 0xfffe
	s_or_b32 exec_lo, exec_lo, s1
	v_add_nc_u32_e32 v5, 0x200, v45
	v_add_nc_u32_e32 v4, 0x400, v45
	;; [unrolled: 1-line block ×3, first 2 shown]
	global_wb scope:SCOPE_SE
	s_wait_dscnt 0x0
	s_barrier_signal -1
	s_barrier_wait -1
	global_inv scope:SCOPE_SE
	ds_load_2addr_b32 v[0:1], v45 offset1:63
	ds_load_2addr_b32 v[2:3], v45 offset0:126 offset1:189
	ds_load_2addr_b32 v[5:6], v5 offset0:124 offset1:187
	;; [unrolled: 1-line block ×4, first 2 shown]
	s_mov_b32 s6, 0x1a01a01a
	s_mov_b32 s7, 0x3f5a01a0
	s_wait_dscnt 0x4
	v_lshrrev_b32_e32 v12, 16, v0
	s_wait_dscnt 0x2
	v_lshrrev_b32_e32 v19, 16, v6
	;; [unrolled: 2-line block ×3, first 2 shown]
	v_mul_f16_e32 v25, v109, v6
	v_lshrrev_b32_e32 v21, 16, v8
	s_wait_dscnt 0x0
	v_lshrrev_b32_e32 v22, 16, v9
	v_mul_f16_e32 v26, v108, v7
	v_mul_f16_e32 v27, v107, v8
	v_lshrrev_b32_e32 v24, 16, v10
	v_mul_f16_e32 v30, v109, v19
	v_fma_f16 v19, v93, v19, -v25
	v_mul_f16_e32 v25, v108, v20
	v_mul_f16_e32 v28, v106, v9
	v_fma_f16 v20, v95, v20, -v26
	v_mul_f16_e32 v26, v107, v21
	v_fma_f16 v21, v96, v21, -v27
	v_mul_f16_e32 v27, v106, v22
	v_mul_f16_e32 v29, v104, v10
	v_fmac_f16_e32 v30, v93, v6
	v_mul_f16_e32 v6, v104, v24
	v_lshrrev_b32_e32 v13, 16, v1
	v_fmac_f16_e32 v25, v95, v7
	v_lshrrev_b32_e32 v14, 16, v2
	v_lshrrev_b32_e32 v15, 16, v3
	v_fma_f16 v22, v97, v22, -v28
	v_fmac_f16_e32 v26, v96, v8
	v_fmac_f16_e32 v27, v97, v9
	v_lshrrev_b32_e32 v23, 16, v5
	v_fma_f16 v24, v98, v24, -v29
	v_fmac_f16_e32 v6, v98, v10
	v_sub_f16_e32 v7, v0, v30
	v_sub_f16_e32 v8, v12, v19
	;; [unrolled: 1-line block ×10, first 2 shown]
	v_fma_f16 v0, v0, 2.0, -v7
	v_fma_f16 v12, v12, 2.0, -v8
	;; [unrolled: 1-line block ×4, first 2 shown]
	v_pack_b32_f16 v7, v7, v8
	v_fma_f16 v2, v2, 2.0, -v19
	v_fma_f16 v14, v14, 2.0, -v20
	;; [unrolled: 1-line block ×6, first 2 shown]
	v_pack_b32_f16 v0, v0, v12
	v_pack_b32_f16 v1, v1, v13
	ds_store_b32 v45, v7 offset:1260
	v_pack_b32_f16 v7, v9, v10
	v_pack_b32_f16 v9, v19, v20
	;; [unrolled: 1-line block ×7, first 2 shown]
	ds_store_2addr_b32 v45, v0, v1 offset1:63
	ds_store_2addr_b32 v4, v7, v9 offset0:122 offset1:185
	ds_store_2addr_b32 v45, v2, v3 offset0:126 offset1:189
	ds_store_b32 v45, v5 offset:1008
	ds_store_2addr_b32 v11, v8, v6 offset0:120 offset1:183
	global_wb scope:SCOPE_SE
	s_wait_dscnt 0x0
	s_barrier_signal -1
	s_barrier_wait -1
	global_inv scope:SCOPE_SE
	ds_load_2addr_b32 v[5:6], v45 offset1:63
	ds_load_2addr_b32 v[0:1], v45 offset0:126 offset1:210
	v_mad_co_u64_u32 v[19:20], null, s10, v18, 0
	v_mad_co_u64_u32 v[21:22], null, s8, v58, 0
	s_wait_dscnt 0x1
	v_lshrrev_b32_e32 v2, 16, v5
	s_wait_dscnt 0x0
	v_lshrrev_b32_e32 v9, 16, v1
	v_mul_f16_e32 v7, v63, v1
	v_mul_f16_e32 v3, v64, v5
	;; [unrolled: 1-line block ×3, first 2 shown]
	s_delay_alu instid0(VALU_DEP_4) | instskip(NEXT) | instid1(VALU_DEP_4)
	v_mul_f16_e32 v13, v63, v9
	v_fma_f16 v11, v62, v9, -v7
	s_delay_alu instid0(VALU_DEP_4) | instskip(NEXT) | instid1(VALU_DEP_4)
	v_fma_f16 v3, v60, v2, -v3
	v_fmac_f16_e32 v10, v60, v5
	s_delay_alu instid0(VALU_DEP_4) | instskip(NEXT) | instid1(VALU_DEP_4)
	v_fmac_f16_e32 v13, v62, v1
	v_cvt_f32_f16_e32 v5, v11
	s_delay_alu instid0(VALU_DEP_4)
	v_cvt_f32_f16_e32 v8, v3
	ds_load_2addr_b32 v[2:3], v4 offset0:164 offset1:227
	v_cvt_f32_f16_e32 v11, v10
	v_cvt_f32_f16_e32 v1, v13
	v_cvt_f64_f32_e32 v[9:10], v5
	v_cvt_f64_f32_e32 v[7:8], v8
	s_delay_alu instid0(VALU_DEP_4) | instskip(NEXT) | instid1(VALU_DEP_4)
	v_cvt_f64_f32_e32 v[11:12], v11
	v_cvt_f64_f32_e32 v[13:14], v1
	s_wait_dscnt 0x0
	v_lshrrev_b32_e32 v15, 16, v2
	s_delay_alu instid0(VALU_DEP_1) | instskip(NEXT) | instid1(VALU_DEP_1)
	v_mul_f16_e32 v1, v61, v15
	v_fmac_f16_e32 v1, v59, v2
	s_delay_alu instid0(VALU_DEP_1) | instskip(NEXT) | instid1(VALU_DEP_1)
	v_cvt_f32_f16_e32 v1, v1
	v_cvt_f64_f32_e32 v[23:24], v1
	s_wait_alu 0xfffe
	v_mul_f64_e32 v[9:10], s[6:7], v[9:10]
	v_mul_f64_e32 v[7:8], s[6:7], v[7:8]
	v_mov_b32_e32 v1, v20
	v_mul_f64_e32 v[11:12], s[6:7], v[11:12]
	v_mul_f64_e32 v[13:14], s[6:7], v[13:14]
	s_delay_alu instid0(VALU_DEP_3) | instskip(NEXT) | instid1(VALU_DEP_1)
	v_mad_co_u64_u32 v[25:26], null, s11, v18, v[1:2]
	v_mov_b32_e32 v20, v25
	v_and_or_b32 v9, 0x1ff, v10, v9
	v_and_or_b32 v11, 0x1ff, v12, v11
	v_bfe_u32 v28, v14, 20, 11
	v_mov_b32_e32 v5, v22
	v_bfe_u32 v25, v12, 20, 11
	v_and_or_b32 v13, 0x1ff, v14, v13
	s_delay_alu instid0(VALU_DEP_3)
	v_mad_co_u64_u32 v[26:27], null, s9, v58, v[5:6]
	v_mul_f16_e32 v5, v61, v2
	v_lshlrev_b64_e32 v[1:2], 2, v[19:20]
	v_sub_nc_u32_e32 v30, 0x3f1, v25
	v_lshrrev_b32_e32 v27, 8, v14
	v_add_nc_u32_e32 v25, 0xfffffc10, v25
	v_fma_f16 v5, v59, v15, -v5
	v_mov_b32_e32 v22, v26
	v_add_co_u32 v1, s0, s4, v1
	s_wait_alu 0xf1ff
	v_add_co_ci_u32_e64 v2, s0, s5, v2, s0
	s_delay_alu instid0(VALU_DEP_3)
	v_lshlrev_b64_e32 v[18:19], 2, v[21:22]
	v_cvt_f32_f16_e32 v5, v5
	v_mul_f64_e32 v[20:21], s[6:7], v[23:24]
	v_lshrrev_b32_e32 v24, 8, v12
	v_bfe_u32 v15, v8, 20, 11
	v_bfe_u32 v23, v10, 20, 11
	v_add_co_u32 v18, s0, v1, v18
	s_wait_alu 0xf1ff
	v_add_co_ci_u32_e64 v19, s0, v2, v19, s0
	v_cvt_f64_f32_e32 v[1:2], v5
	v_and_or_b32 v5, 0x1ff, v8, v7
	v_lshrrev_b32_e32 v7, 8, v8
	v_lshrrev_b32_e32 v22, 8, v10
	v_sub_nc_u32_e32 v26, 0x3f1, v15
	v_sub_nc_u32_e32 v29, 0x3f1, v23
	v_cmp_ne_u32_e64 s0, 0, v5
	v_add_nc_u32_e32 v15, 0xfffffc10, v15
	v_lshrrev_b32_e32 v12, 16, v12
	v_lshrrev_b32_e32 v8, 16, v8
	v_add_nc_u32_e32 v23, 0xfffffc10, v23
	s_wait_alu 0xf1ff
	v_cndmask_b32_e64 v5, 0, 1, s0
	v_cmp_ne_u32_e64 s0, 0, v9
	v_lshrrev_b32_e32 v14, 16, v14
	v_lshrrev_b32_e32 v10, 16, v10
	s_delay_alu instid0(VALU_DEP_4)
	v_and_or_b32 v5, 0xffe, v7, v5
	s_wait_alu 0xf1ff
	v_cndmask_b32_e64 v9, 0, 1, s0
	v_cmp_ne_u32_e64 s0, 0, v11
	v_med3_i32 v7, v26, 0, 13
	v_sub_nc_u32_e32 v26, 0x3f1, v28
	v_add_nc_u32_e32 v28, 0xfffffc10, v28
	v_and_or_b32 v9, 0xffe, v22, v9
	s_wait_alu 0xf1ff
	v_cndmask_b32_e64 v11, 0, 1, s0
	v_cmp_ne_u32_e64 s0, 0, v13
	v_med3_i32 v22, v29, 0, 13
	v_or_b32_e32 v29, 0x1000, v5
	v_med3_i32 v26, v26, 0, 13
	v_and_or_b32 v11, 0xffe, v24, v11
	s_wait_alu 0xf1ff
	v_cndmask_b32_e64 v13, 0, 1, s0
	v_med3_i32 v24, v30, 0, 13
	v_cmp_ne_u32_e64 s0, 0, v5
	v_lshl_or_b32 v30, v15, 12, v5
	v_or_b32_e32 v31, 0x1000, v11
	v_and_or_b32 v13, 0xffe, v27, v13
	v_lshrrev_b32_e32 v34, v7, v29
	s_wait_alu 0xf1ff
	v_cndmask_b32_e64 v5, 0, 1, s0
	v_cmp_ne_u32_e64 s0, 0, v11
	v_lshrrev_b32_e32 v27, v24, v31
	v_or_b32_e32 v35, 0x1000, v13
	v_lshl_or_b32 v33, v25, 12, v11
	v_lshlrev_b32_e32 v7, v7, v34
	s_wait_alu 0xf1ff
	v_cndmask_b32_e64 v11, 0, 1, s0
	v_lshlrev_b32_e32 v24, v24, v27
	v_lshrrev_b32_e32 v36, v26, v35
	v_cmp_gt_i32_e64 s4, 1, v28
	v_or_b32_e32 v32, 0x1000, v9
	v_lshl_or_b32 v11, v11, 9, 0x7c00
	v_cmp_ne_u32_e64 s0, v24, v31
	v_lshlrev_b32_e32 v26, v26, v36
	v_lshl_or_b32 v5, v5, 9, 0x7c00
	v_lshrrev_b32_e32 v31, v22, v32
	s_wait_alu 0xf1ff
	v_cndmask_b32_e64 v24, 0, 1, s0
	v_cmp_ne_u32_e64 s0, v7, v29
	v_lshl_or_b32 v29, v28, 12, v13
	v_lshlrev_b32_e32 v22, v22, v31
	s_delay_alu instid0(VALU_DEP_4) | instskip(SKIP_3) | instid1(VALU_DEP_2)
	v_or_b32_e32 v24, v27, v24
	s_wait_alu 0xf1ff
	v_cndmask_b32_e64 v7, 0, 1, s0
	v_cmp_ne_u32_e64 s0, v26, v35
	v_or_b32_e32 v7, v34, v7
	s_wait_alu 0xf1ff
	s_delay_alu instid0(VALU_DEP_2) | instskip(SKIP_1) | instid1(VALU_DEP_2)
	v_cndmask_b32_e64 v26, 0, 1, s0
	v_cmp_gt_i32_e64 s0, 1, v25
	v_or_b32_e32 v26, v36, v26
	s_wait_alu 0xf1ff
	s_delay_alu instid0(VALU_DEP_2) | instskip(SKIP_1) | instid1(VALU_DEP_3)
	v_cndmask_b32_e64 v24, v33, v24, s0
	v_cmp_gt_i32_e64 s0, 1, v15
	v_cndmask_b32_e64 v26, v29, v26, s4
	s_delay_alu instid0(VALU_DEP_3) | instskip(SKIP_1) | instid1(VALU_DEP_3)
	v_and_b32_e32 v27, 7, v24
	s_wait_alu 0xf1ff
	v_cndmask_b32_e64 v7, v30, v7, s0
	v_lshrrev_b32_e32 v24, 2, v24
	s_delay_alu instid0(VALU_DEP_3) | instskip(NEXT) | instid1(VALU_DEP_3)
	v_cmp_lt_i32_e64 s0, 5, v27
	v_and_b32_e32 v30, 7, v7
	v_cmp_eq_u32_e64 s1, 3, v27
	v_lshrrev_b32_e32 v7, 2, v7
	v_and_b32_e32 v27, 7, v26
	s_delay_alu instid0(VALU_DEP_4) | instskip(SKIP_2) | instid1(VALU_DEP_3)
	v_cmp_lt_i32_e64 s2, 5, v30
	v_cmp_eq_u32_e64 s3, 3, v30
	s_or_b32 s0, s1, s0
	v_cmp_eq_u32_e64 s1, 3, v27
	s_wait_alu 0xfffe
	v_add_co_ci_u32_e64 v24, s0, 0, v24, s0
	s_or_b32 s0, s3, s2
	v_cmp_eq_u32_e64 s2, 0x40f, v15
	s_wait_alu 0xfffe
	v_add_co_ci_u32_e64 v7, s0, 0, v7, s0
	v_cmp_gt_i32_e64 s0, 31, v25
	s_wait_alu 0xf1ff
	s_delay_alu instid0(VALU_DEP_1) | instskip(SKIP_2) | instid1(VALU_DEP_1)
	v_cndmask_b32_e64 v24, 0x7c00, v24, s0
	v_cmp_gt_i32_e64 s0, 31, v15
	s_wait_alu 0xf1ff
	v_cndmask_b32_e64 v7, 0x7c00, v7, s0
	v_cmp_eq_u32_e64 s0, 0x40f, v25
	s_delay_alu instid0(VALU_DEP_2) | instskip(SKIP_1) | instid1(VALU_DEP_2)
	v_cndmask_b32_e64 v5, v7, v5, s2
	s_wait_alu 0xf1ff
	v_cndmask_b32_e64 v11, v24, v11, s0
	v_cmp_lt_i32_e64 s0, 5, v27
	v_cmp_ne_u32_e64 s2, v22, v32
	v_lshrrev_b32_e32 v22, 16, v6
	v_and_or_b32 v5, 0x8000, v8, v5
	v_and_or_b32 v7, 0x8000, v12, v11
	v_lshrrev_b32_e32 v12, 2, v26
	s_or_b32 s0, s1, s0
	v_cndmask_b32_e64 v11, 0, 1, s2
	s_mul_u64 s[2:3], s[8:9], 0xd2
	v_and_b32_e32 v7, 0xffff, v7
	s_wait_alu 0xfffe
	v_add_co_ci_u32_e64 v8, s0, 0, v12, s0
	v_cmp_ne_u32_e64 s0, 0, v13
	v_or_b32_e32 v11, v31, v11
	v_lshl_or_b32 v15, v5, 16, v7
	v_lshl_or_b32 v13, v23, 12, v9
	s_lshl_b64 s[12:13], s[2:3], 2
	v_cndmask_b32_e64 v12, 0, 1, s0
	v_cmp_gt_i32_e64 s0, 31, v28
	s_delay_alu instid0(VALU_DEP_2) | instskip(SKIP_1) | instid1(VALU_DEP_2)
	v_lshl_or_b32 v12, v12, 9, 0x7c00
	s_wait_alu 0xf1ff
	v_cndmask_b32_e64 v5, 0x7c00, v8, s0
	v_cmp_gt_i32_e64 s0, 1, v23
	v_mul_f64_e32 v[7:8], s[6:7], v[1:2]
	v_and_or_b32 v2, 0x1ff, v21, v20
	v_bfe_u32 v20, v21, 20, 11
	s_wait_alu 0xf1ff
	v_cndmask_b32_e64 v1, v13, v11, s0
	v_cmp_eq_u32_e64 s0, 0x40f, v28
	v_mul_f16_e32 v11, v57, v22
	v_lshrrev_b32_e32 v13, 8, v21
	v_sub_nc_u32_e32 v24, 0x3f1, v20
	v_lshrrev_b32_e32 v21, 16, v21
	s_wait_alu 0xf1ff
	v_cndmask_b32_e64 v5, v5, v12, s0
	v_cmp_ne_u32_e64 s0, 0, v2
	v_and_b32_e32 v12, 7, v1
	v_fmac_f16_e32 v11, v56, v6
	v_med3_i32 v24, v24, 0, 13
	v_mul_f16_e32 v6, v57, v6
	s_wait_alu 0xf1ff
	v_cndmask_b32_e64 v2, 0, 1, s0
	v_cmp_lt_i32_e64 s0, 5, v12
	v_cmp_eq_u32_e64 s1, 3, v12
	v_cvt_f32_f16_e32 v11, v11
	v_lshrrev_b32_e32 v12, 2, v1
	v_and_or_b32 v13, 0xffe, v13, v2
	v_and_or_b32 v14, 0x8000, v14, v5
	s_or_b32 s0, s1, s0
	v_cvt_f64_f32_e32 v[1:2], v11
	s_wait_alu 0xfffe
	v_add_co_ci_u32_e64 v12, s0, 0, v12, s0
	v_or_b32_e32 v11, 0x1000, v13
	v_cmp_ne_u32_e64 s0, 0, v9
	v_fma_f16 v6, v56, v22, -v6
	v_and_b32_e32 v14, 0xffff, v14
	s_delay_alu instid0(VALU_DEP_4) | instskip(SKIP_3) | instid1(VALU_DEP_3)
	v_lshrrev_b32_e32 v25, v24, v11
	s_wait_alu 0xf1ff
	v_cndmask_b32_e64 v9, 0, 1, s0
	v_cmp_gt_i32_e64 s0, 31, v23
	v_lshlrev_b32_e32 v5, v24, v25
	s_delay_alu instid0(VALU_DEP_3) | instskip(SKIP_1) | instid1(VALU_DEP_3)
	v_lshl_or_b32 v9, v9, 9, 0x7c00
	s_wait_alu 0xf1ff
	v_cndmask_b32_e64 v12, 0x7c00, v12, s0
	v_cmp_eq_u32_e64 s0, 0x40f, v23
	v_and_or_b32 v7, 0x1ff, v8, v7
	v_bfe_u32 v22, v8, 20, 11
	s_wait_alu 0xf1ff
	s_delay_alu instid0(VALU_DEP_3)
	v_cndmask_b32_e64 v9, v12, v9, s0
	v_cmp_ne_u32_e64 s0, v5, v11
	v_cvt_f32_f16_e32 v5, v6
	v_add_nc_u32_e32 v12, 0xfffffc10, v20
	v_lshrrev_b32_e32 v20, 8, v8
	s_wait_alu 0xf1ff
	v_cndmask_b32_e64 v11, 0, 1, s0
	v_cmp_ne_u32_e64 s0, 0, v7
	v_cvt_f64_f32_e32 v[5:6], v5
	v_lshl_or_b32 v23, v12, 12, v13
	s_delay_alu instid0(VALU_DEP_4) | instskip(SKIP_3) | instid1(VALU_DEP_2)
	v_or_b32_e32 v11, v25, v11
	s_wait_alu 0xf1ff
	v_cndmask_b32_e64 v7, 0, 1, s0
	v_cmp_gt_i32_e64 s0, 1, v12
	v_and_or_b32 v20, 0xffe, v20, v7
	v_sub_nc_u32_e32 v7, 0x3f1, v22
	s_wait_alu 0xf1ff
	s_delay_alu instid0(VALU_DEP_3)
	v_cndmask_b32_e64 v11, v23, v11, s0
	v_and_or_b32 v23, 0x8000, v10, v9
	v_mul_f64_e32 v[9:10], s[6:7], v[1:2]
	v_or_b32_e32 v24, 0x1000, v20
	v_med3_i32 v7, v7, 0, 13
	v_and_b32_e32 v25, 7, v11
	ds_load_2addr_b32 v[1:2], v4 offset0:17 offset1:80
	v_lshrrev_b32_e32 v11, 2, v11
	v_lshl_or_b32 v23, v23, 16, v14
	v_lshrrev_b32_e32 v4, v7, v24
	v_cmp_lt_i32_e64 s0, 5, v25
	v_cmp_eq_u32_e64 s1, 3, v25
	v_add_nc_u32_e32 v14, 0xfffffc10, v22
	s_delay_alu instid0(VALU_DEP_4) | instskip(NEXT) | instid1(VALU_DEP_3)
	v_lshlrev_b32_e32 v7, v7, v4
	s_or_b32 s0, s1, s0
	s_delay_alu instid0(VALU_DEP_2) | instskip(SKIP_4) | instid1(VALU_DEP_1)
	v_lshl_or_b32 v22, v14, 12, v20
	s_wait_alu 0xfffe
	v_add_co_ci_u32_e64 v11, s0, 0, v11, s0
	v_cmp_ne_u32_e64 s0, v7, v24
	s_wait_alu 0xf1ff
	v_cndmask_b32_e64 v7, 0, 1, s0
	v_cmp_ne_u32_e64 s0, 0, v13
	s_wait_dscnt 0x0
	v_lshrrev_b32_e32 v24, 16, v1
	s_delay_alu instid0(VALU_DEP_3)
	v_or_b32_e32 v7, v4, v7
	s_wait_alu 0xf1ff
	v_cndmask_b32_e64 v13, 0, 1, s0
	v_cmp_gt_i32_e64 s0, 31, v12
	v_mul_f64_e32 v[4:5], s[6:7], v[5:6]
	v_mul_f16_e32 v25, v55, v24
	s_delay_alu instid0(VALU_DEP_4)
	v_lshl_or_b32 v13, v13, 9, 0x7c00
	s_wait_alu 0xf1ff
	v_cndmask_b32_e64 v11, 0x7c00, v11, s0
	v_cmp_gt_i32_e64 s0, 1, v14
	v_fmac_f16_e32 v25, v54, v1
	v_and_or_b32 v9, 0x1ff, v10, v9
	v_mul_f16_e32 v1, v55, v1
	s_wait_alu 0xf1ff
	v_cndmask_b32_e64 v22, v22, v7, s0
	v_add_co_u32 v6, s0, v18, s12
	s_wait_alu 0xf1ff
	v_add_co_ci_u32_e64 v7, s0, s13, v19, s0
	v_cmp_eq_u32_e64 s0, 0x40f, v12
	v_and_b32_e32 v26, 7, v22
	v_cmp_ne_u32_e64 s2, 0, v9
	v_fma_f16 v1, v54, v24, -v1
	s_clause 0x1
	global_store_b32 v[18:19], v15, off
	global_store_b32 v[6:7], v23, off
	s_wait_alu 0xf1ff
	v_cndmask_b32_e64 v13, v11, v13, s0
	v_cvt_f32_f16_e32 v11, v25
	v_cmp_lt_i32_e64 s0, 5, v26
	v_cmp_eq_u32_e64 s1, 3, v26
	v_cndmask_b32_e64 v9, 0, 1, s2
	v_lshrrev_b32_e32 v25, 8, v10
	v_cvt_f64_f32_e32 v[11:12], v11
	v_and_or_b32 v21, 0x8000, v21, v13
	v_lshrrev_b32_e32 v13, 2, v22
	v_bfe_u32 v22, v10, 20, 11
	s_or_b32 s0, s1, s0
	v_and_or_b32 v25, 0xffe, v25, v9
	v_cvt_f32_f16_e32 v1, v1
	s_wait_alu 0xfffe
	v_add_co_ci_u32_e64 v9, s0, 0, v13, s0
	v_sub_nc_u32_e32 v13, 0x3f1, v22
	v_cmp_ne_u32_e64 s0, 0, v20
	v_or_b32_e32 v26, 0x1000, v25
	v_and_or_b32 v4, 0x1ff, v5, v4
	v_lshrrev_b32_e32 v27, 8, v5
	v_med3_i32 v13, v13, 0, 13
	s_wait_alu 0xf1ff
	v_cndmask_b32_e64 v20, 0, 1, s0
	v_cmp_gt_i32_e64 s0, 31, v14
	v_add_nc_u32_e32 v22, 0xfffffc10, v22
	v_lshrrev_b32_e32 v10, 16, v10
	v_lshrrev_b32_e32 v24, v13, v26
	v_lshl_or_b32 v20, v20, 9, 0x7c00
	s_wait_alu 0xf1ff
	v_cndmask_b32_e64 v9, 0x7c00, v9, s0
	v_cmp_eq_u32_e64 s0, 0x40f, v14
	v_lshl_or_b32 v28, v22, 12, v25
	s_wait_alu 0xf1ff
	s_delay_alu instid0(VALU_DEP_2)
	v_cndmask_b32_e64 v20, v9, v20, s0
	v_lshlrev_b32_e32 v9, v13, v24
	v_cmp_ne_u32_e64 s0, 0, v4
	v_cvt_f64_f32_e32 v[13:14], v1
	v_bfe_u32 v1, v5, 20, 11
	v_lshrrev_b32_e32 v5, 16, v5
	s_wait_alu 0xf1ff
	v_cndmask_b32_e64 v4, 0, 1, s0
	v_cmp_ne_u32_e64 s0, v9, v26
	v_lshrrev_b32_e32 v26, 16, v8
	s_delay_alu instid0(VALU_DEP_3) | instskip(SKIP_1) | instid1(VALU_DEP_3)
	v_and_or_b32 v4, 0xffe, v27, v4
	s_wait_alu 0xf1ff
	v_cndmask_b32_e64 v9, 0, 1, s0
	v_sub_nc_u32_e32 v27, 0x3f1, v1
	v_cmp_gt_i32_e64 s0, 1, v22
	v_add_nc_u32_e32 v1, 0xfffffc10, v1
	v_or_b32_e32 v29, 0x1000, v4
	v_or_b32_e32 v24, v24, v9
	v_mul_f64_e32 v[8:9], s[6:7], v[11:12]
	v_med3_i32 v11, v27, 0, 13
	v_and_or_b32 v12, 0x8000, v26, v20
	v_and_b32_e32 v20, 0xffff, v21
	s_wait_alu 0xf1ff
	v_cndmask_b32_e64 v21, v28, v24, s0
	v_add_co_u32 v6, s0, v6, s12
	v_lshrrev_b32_e32 v24, v11, v29
	v_lshl_or_b32 v15, v12, 16, v20
	s_delay_alu instid0(VALU_DEP_4)
	v_and_b32_e32 v12, 7, v21
	s_wait_alu 0xf1ff
	v_add_co_ci_u32_e64 v7, s0, s13, v7, s0
	v_lshlrev_b32_e32 v11, v11, v24
	v_lshl_or_b32 v20, v1, 12, v4
	v_cmp_lt_i32_e64 s0, 5, v12
	v_cmp_eq_u32_e64 s1, 3, v12
	v_lshrrev_b32_e32 v12, 2, v21
	v_cmp_ne_u32_e64 s2, v11, v29
	v_lshrrev_b32_e32 v21, 16, v3
	s_delay_alu instid0(VALU_DEP_4) | instskip(SKIP_4) | instid1(VALU_DEP_2)
	s_or_b32 s0, s1, s0
	s_wait_alu 0xfffe
	v_add_co_ci_u32_e64 v18, s0, 0, v12, s0
	v_cndmask_b32_e64 v11, 0, 1, s2
	v_cmp_ne_u32_e64 s0, 0, v25
	v_or_b32_e32 v19, v24, v11
	v_mul_f64_e32 v[11:12], s[6:7], v[13:14]
	s_wait_alu 0xf1ff
	s_delay_alu instid0(VALU_DEP_3) | instskip(SKIP_2) | instid1(VALU_DEP_3)
	v_cndmask_b32_e64 v13, 0, 1, s0
	v_cmp_gt_i32_e64 s0, 1, v1
	v_mul_f16_e32 v14, v53, v21
	v_lshl_or_b32 v13, v13, 9, 0x7c00
	s_wait_alu 0xf1ff
	s_delay_alu instid0(VALU_DEP_3)
	v_cndmask_b32_e64 v19, v20, v19, s0
	v_cmp_gt_i32_e64 s0, 31, v22
	v_and_or_b32 v8, 0x1ff, v9, v8
	v_fmac_f16_e32 v14, v52, v3
	v_bfe_u32 v23, v9, 20, 11
	v_and_b32_e32 v20, 7, v19
	s_wait_alu 0xf1ff
	v_cndmask_b32_e64 v18, 0x7c00, v18, s0
	v_cmp_eq_u32_e64 s0, 0x40f, v22
	v_cmp_ne_u32_e64 s1, 0, v8
	v_lshrrev_b32_e32 v22, 8, v9
	v_mul_f16_e32 v3, v53, v3
	v_lshrrev_b32_e32 v9, 16, v9
	s_wait_alu 0xf1ff
	v_cndmask_b32_e64 v18, v18, v13, s0
	v_cvt_f32_f16_e32 v13, v14
	v_cmp_lt_i32_e64 s0, 5, v20
	v_cndmask_b32_e64 v8, 0, 1, s1
	v_cmp_eq_u32_e64 s1, 3, v20
	v_and_or_b32 v18, 0x8000, v10, v18
	v_cvt_f64_f32_e32 v[13:14], v13
	v_lshrrev_b32_e32 v10, 2, v19
	v_and_or_b32 v8, 0xffe, v22, v8
	s_or_b32 s0, s1, s0
	v_sub_nc_u32_e32 v19, 0x3f1, v23
	v_fma_f16 v3, v52, v21, -v3
	s_wait_alu 0xfffe
	v_add_co_ci_u32_e64 v10, s0, 0, v10, s0
	v_cmp_ne_u32_e64 s0, 0, v4
	v_or_b32_e32 v20, 0x1000, v8
	v_med3_i32 v19, v19, 0, 13
	v_cvt_f32_f16_e32 v3, v3
	v_and_b32_e32 v18, 0xffff, v18
	s_wait_alu 0xf1ff
	v_cndmask_b32_e64 v4, 0, 1, s0
	v_cmp_gt_i32_e64 s0, 31, v1
	v_lshrrev_b32_e32 v22, v19, v20
	v_and_or_b32 v11, 0x1ff, v12, v11
	v_bfe_u32 v21, v12, 20, 11
	v_lshl_or_b32 v4, v4, 9, 0x7c00
	s_wait_alu 0xf1ff
	v_cndmask_b32_e64 v10, 0x7c00, v10, s0
	v_cmp_eq_u32_e64 s0, 0x40f, v1
	s_wait_alu 0xf1ff
	s_delay_alu instid0(VALU_DEP_1)
	v_cndmask_b32_e64 v1, v10, v4, s0
	v_lshlrev_b32_e32 v10, v19, v22
	v_cmp_ne_u32_e64 s0, 0, v11
	v_cvt_f64_f32_e32 v[3:4], v3
	v_lshrrev_b32_e32 v19, 8, v12
	v_and_or_b32 v1, 0x8000, v5, v1
	v_lshrrev_b32_e32 v12, 16, v12
	s_wait_alu 0xf1ff
	v_cndmask_b32_e64 v11, 0, 1, s0
	v_cmp_ne_u32_e64 s0, v10, v20
	v_add_nc_u32_e32 v20, 0xfffffc10, v23
	v_lshl_or_b32 v24, v1, 16, v18
	s_delay_alu instid0(VALU_DEP_4)
	v_and_or_b32 v5, 0xffe, v19, v11
	s_wait_alu 0xf1ff
	v_cndmask_b32_e64 v10, 0, 1, s0
	v_sub_nc_u32_e32 v19, 0x3f1, v21
	v_lshl_or_b32 v23, v20, 12, v8
	v_cmp_gt_i32_e64 s0, 1, v20
	v_add_nc_u32_e32 v21, 0xfffffc10, v21
	v_or_b32_e32 v22, v22, v10
	v_mul_f64_e32 v[10:11], s[6:7], v[13:14]
	v_or_b32_e32 v13, 0x1000, v5
	v_med3_i32 v14, v19, 0, 13
	v_lshl_or_b32 v18, v21, 12, v5
	s_wait_alu 0xf1ff
	v_cndmask_b32_e64 v19, v23, v22, s0
	s_movk_i32 s0, 0xfe9b
	s_mov_b32 s1, -1
	v_lshrrev_b32_e32 v22, v14, v13
	s_wait_alu 0xfffe
	s_mul_u64 s[0:1], s[8:9], s[0:1]
	v_and_b32_e32 v23, 7, v19
	s_wait_alu 0xfffe
	s_lshl_b64 s[4:5], s[0:1], 2
	v_lshlrev_b32_e32 v1, v14, v22
	v_lshrrev_b32_e32 v14, 2, v19
	v_cmp_lt_i32_e64 s0, 5, v23
	v_cmp_eq_u32_e64 s1, 3, v23
	v_lshrrev_b32_e32 v23, 16, v0
	v_cmp_ne_u32_e64 s2, v1, v13
	s_delay_alu instid0(VALU_DEP_3) | instskip(NEXT) | instid1(VALU_DEP_2)
	s_or_b32 s0, s1, s0
	v_mul_f16_e32 v13, v51, v23
	s_wait_alu 0xfffe
	v_add_co_ci_u32_e64 v14, s0, 0, v14, s0
	v_cndmask_b32_e64 v1, 0, 1, s2
	v_cmp_ne_u32_e64 s0, 0, v8
	v_fmac_f16_e32 v13, v50, v0
	v_mul_f64_e32 v[3:4], s[6:7], v[3:4]
	s_delay_alu instid0(VALU_DEP_4) | instskip(SKIP_4) | instid1(VALU_DEP_3)
	v_or_b32_e32 v1, v22, v1
	s_wait_alu 0xf1ff
	v_cndmask_b32_e64 v8, 0, 1, s0
	v_cmp_gt_i32_e64 s0, 1, v21
	v_cvt_f32_f16_e32 v13, v13
	v_lshl_or_b32 v8, v8, 9, 0x7c00
	s_wait_alu 0xf1ff
	s_delay_alu instid0(VALU_DEP_3) | instskip(SKIP_2) | instid1(VALU_DEP_3)
	v_cndmask_b32_e64 v1, v18, v1, s0
	v_cmp_gt_i32_e64 s0, 31, v20
	v_and_or_b32 v10, 0x1ff, v11, v10
	v_and_b32_e32 v25, 7, v1
	s_wait_alu 0xf1ff
	s_delay_alu instid0(VALU_DEP_3)
	v_cndmask_b32_e64 v22, 0x7c00, v14, s0
	v_cvt_f64_f32_e32 v[13:14], v13
	v_add_co_u32 v18, s0, v6, s4
	s_wait_alu 0xf1ff
	v_add_co_ci_u32_e64 v19, s0, s5, v7, s0
	v_cmp_eq_u32_e64 s0, 0x40f, v20
	v_cmp_ne_u32_e64 s1, 0, v10
	v_lshrrev_b32_e32 v1, 2, v1
	v_lshrrev_b32_e32 v20, 8, v11
	s_clause 0x1
	global_store_b32 v[6:7], v15, off
	global_store_b32 v[18:19], v24, off
	s_wait_alu 0xf1ff
	v_cndmask_b32_e64 v8, v22, v8, s0
	v_cmp_lt_i32_e64 s0, 5, v25
	v_cndmask_b32_e64 v10, 0, 1, s1
	v_cmp_eq_u32_e64 s1, 3, v25
	v_bfe_u32 v22, v11, 20, 11
	v_and_or_b32 v26, 0x8000, v9, v8
	v_lshrrev_b32_e32 v11, 16, v11
	v_and_or_b32 v10, 0xffe, v20, v10
	s_or_b32 s0, s1, s0
	v_sub_nc_u32_e32 v20, 0x3f1, v22
	s_wait_alu 0xfffe
	v_add_co_ci_u32_e64 v1, s0, 0, v1, s0
	v_cmp_ne_u32_e64 s0, 0, v5
	v_or_b32_e32 v25, 0x1000, v10
	v_med3_i32 v20, v20, 0, 13
	v_and_or_b32 v3, 0x1ff, v4, v3
	v_bfe_u32 v27, v4, 20, 11
	s_wait_alu 0xf1ff
	v_cndmask_b32_e64 v5, 0, 1, s0
	v_cmp_gt_i32_e64 s0, 31, v21
	v_lshrrev_b32_e32 v8, v20, v25
	s_delay_alu instid0(VALU_DEP_3) | instskip(SKIP_1) | instid1(VALU_DEP_3)
	v_lshl_or_b32 v5, v5, 9, 0x7c00
	s_wait_alu 0xf1ff
	v_cndmask_b32_e64 v1, 0x7c00, v1, s0
	v_cmp_eq_u32_e64 s0, 0x40f, v21
	v_lshlrev_b32_e32 v9, v20, v8
	v_mul_f16_e32 v20, v51, v0
	v_lshrrev_b32_e32 v21, 8, v4
	v_lshrrev_b32_e32 v4, 16, v4
	s_wait_alu 0xf1ff
	v_cndmask_b32_e64 v5, v1, v5, s0
	v_cmp_ne_u32_e64 s0, 0, v3
	v_mul_f64_e32 v[0:1], s[6:7], v[13:14]
	v_fma_f16 v13, v50, v23, -v20
	v_add_nc_u32_e32 v14, 0xfffffc10, v22
	v_sub_nc_u32_e32 v20, 0x3f1, v27
	s_wait_alu 0xf1ff
	v_cndmask_b32_e64 v3, 0, 1, s0
	v_cmp_ne_u32_e64 s0, v9, v25
	v_cvt_f32_f16_e32 v13, v13
	v_lshl_or_b32 v22, v14, 12, v10
	v_med3_i32 v20, v20, 0, 13
	v_and_or_b32 v3, 0xffe, v21, v3
	s_wait_alu 0xf1ff
	v_cndmask_b32_e64 v9, 0, 1, s0
	v_cmp_gt_i32_e64 s0, 1, v14
	v_and_or_b32 v5, 0x8000, v12, v5
	v_and_b32_e32 v12, 0xffff, v26
	v_or_b32_e32 v23, 0x1000, v3
	v_or_b32_e32 v21, v8, v9
	v_cvt_f64_f32_e32 v[8:9], v13
	v_cmp_eq_u32_e64 s2, 0x40f, v14
	v_lshl_or_b32 v15, v5, 16, v12
	s_wait_alu 0xf1ff
	v_cndmask_b32_e64 v13, v22, v21, s0
	v_lshrrev_b32_e32 v21, v20, v23
	v_add_co_u32 v5, s0, v18, s12
	v_lshrrev_b32_e32 v18, 16, v2
	s_delay_alu instid0(VALU_DEP_4) | instskip(NEXT) | instid1(VALU_DEP_4)
	v_and_b32_e32 v7, 7, v13
	v_lshlrev_b32_e32 v12, v20, v21
	s_wait_alu 0xf1ff
	v_add_co_ci_u32_e64 v6, s0, s13, v19, s0
	v_add_nc_u32_e32 v19, 0xfffffc10, v27
	v_cmp_lt_i32_e64 s0, 5, v7
	v_cmp_ne_u32_e64 s1, v12, v23
	v_mul_f16_e32 v20, v49, v18
	s_wait_alu 0xf1ff
	s_delay_alu instid0(VALU_DEP_2)
	v_cndmask_b32_e64 v12, 0, 1, s1
	v_cmp_eq_u32_e64 s1, 3, v7
	v_lshrrev_b32_e32 v7, 2, v13
	v_lshl_or_b32 v13, v19, 12, v3
	v_fmac_f16_e32 v20, v48, v2
	v_or_b32_e32 v12, v21, v12
	s_or_b32 s0, s1, s0
	v_and_or_b32 v0, 0x1ff, v1, v0
	s_wait_alu 0xfffe
	v_add_co_ci_u32_e64 v21, s0, 0, v7, s0
	v_cmp_gt_i32_e64 s0, 1, v19
	v_cvt_f32_f16_e32 v7, v20
	v_lshrrev_b32_e32 v22, 8, v1
	v_bfe_u32 v23, v1, 20, 11
	v_lshrrev_b32_e32 v1, 16, v1
	s_wait_alu 0xf1ff
	v_cndmask_b32_e64 v20, v13, v12, s0
	v_cmp_ne_u32_e64 s0, 0, v0
	v_cvt_f64_f32_e32 v[12:13], v7
	v_mul_f64_e32 v[7:8], s[6:7], v[8:9]
	s_wait_alu 0xf1ff
	s_delay_alu instid0(VALU_DEP_3) | instskip(SKIP_2) | instid1(VALU_DEP_3)
	v_cndmask_b32_e64 v0, 0, 1, s0
	v_cmp_ne_u32_e64 s0, 0, v10
	v_and_b32_e32 v10, 7, v20
	v_and_or_b32 v0, 0xffe, v22, v0
	s_wait_alu 0xf1ff
	s_delay_alu instid0(VALU_DEP_3)
	v_cndmask_b32_e64 v9, 0, 1, s0
	v_cmp_gt_i32_e64 s0, 31, v14
	v_sub_nc_u32_e32 v22, 0x3f1, v23
	v_cmp_eq_u32_e64 s1, 3, v10
	v_or_b32_e32 v24, 0x1000, v0
	v_lshl_or_b32 v9, v9, 9, 0x7c00
	s_wait_alu 0xf1ff
	v_cndmask_b32_e64 v21, 0x7c00, v21, s0
	v_cmp_lt_i32_e64 s0, 5, v10
	v_lshrrev_b32_e32 v10, 2, v20
	v_med3_i32 v22, v22, 0, 13
	s_delay_alu instid0(VALU_DEP_4) | instskip(NEXT) | instid1(VALU_DEP_4)
	v_cndmask_b32_e64 v9, v21, v9, s2
	s_or_b32 s0, s1, s0
	s_wait_alu 0xfffe
	v_add_co_ci_u32_e64 v10, s0, 0, v10, s0
	v_lshrrev_b32_e32 v14, v22, v24
	v_cmp_ne_u32_e64 s0, 0, v3
	v_and_or_b32 v11, 0x8000, v11, v9
	s_delay_alu instid0(VALU_DEP_3) | instskip(SKIP_1) | instid1(VALU_DEP_3)
	v_lshlrev_b32_e32 v20, v22, v14
	s_wait_alu 0xf1ff
	v_cndmask_b32_e64 v3, 0, 1, s0
	v_cmp_gt_i32_e64 s0, 31, v19
	v_and_b32_e32 v11, 0xffff, v11
	s_delay_alu instid0(VALU_DEP_3) | instskip(SKIP_1) | instid1(VALU_DEP_3)
	v_lshl_or_b32 v3, v3, 9, 0x7c00
	s_wait_alu 0xf1ff
	v_cndmask_b32_e64 v10, 0x7c00, v10, s0
	v_cmp_ne_u32_e64 s0, v20, v24
	ds_load_b32 v20, v45 offset:2184
	v_and_or_b32 v7, 0x1ff, v8, v7
	s_wait_alu 0xf1ff
	v_cndmask_b32_e64 v9, 0, 1, s0
	v_cmp_eq_u32_e64 s0, 0x40f, v19
	v_add_nc_u32_e32 v19, 0xfffffc10, v23
	s_delay_alu instid0(VALU_DEP_3)
	v_or_b32_e32 v9, v14, v9
	v_mul_f16_e32 v14, v49, v2
	s_wait_alu 0xf1ff
	v_cndmask_b32_e64 v10, v10, v3, s0
	v_mul_f64_e32 v[2:3], s[6:7], v[12:13]
	v_lshl_or_b32 v12, v19, 12, v0
	v_cmp_gt_i32_e64 s0, 1, v19
	v_fma_f16 v13, v48, v18, -v14
	v_and_or_b32 v4, 0x8000, v4, v10
	v_bfe_u32 v14, v8, 20, 11
	s_wait_alu 0xf1ff
	v_cndmask_b32_e64 v12, v12, v9, s0
	v_cvt_f32_f16_e32 v9, v13
	v_cmp_ne_u32_e64 s0, 0, v7
	v_lshrrev_b32_e32 v13, 8, v8
	s_wait_dscnt 0x0
	v_lshrrev_b32_e32 v21, 16, v20
	v_and_b32_e32 v18, 7, v12
	v_cvt_f64_f32_e32 v[9:10], v9
	s_wait_alu 0xf1ff
	v_cndmask_b32_e64 v7, 0, 1, s0
	v_lshl_or_b32 v4, v4, 16, v11
	v_lshrrev_b32_e32 v11, 2, v12
	v_cmp_lt_i32_e64 s0, 5, v18
	v_cmp_eq_u32_e64 s1, 3, v18
	v_and_or_b32 v7, 0xffe, v13, v7
	v_sub_nc_u32_e32 v13, 0x3f1, v14
	v_mul_f16_e32 v23, v47, v21
	s_delay_alu instid0(VALU_DEP_4) | instskip(NEXT) | instid1(VALU_DEP_3)
	s_or_b32 s0, s1, s0
	v_or_b32_e32 v22, 0x1000, v7
	s_delay_alu instid0(VALU_DEP_3)
	v_med3_i32 v13, v13, 0, 13
	s_wait_alu 0xfffe
	v_add_co_ci_u32_e64 v11, s0, 0, v11, s0
	v_fmac_f16_e32 v23, v46, v20
	v_cmp_ne_u32_e64 s0, 0, v0
	v_lshrrev_b32_e32 v18, v13, v22
	s_delay_alu instid0(VALU_DEP_3) | instskip(SKIP_1) | instid1(VALU_DEP_3)
	v_cvt_f32_f16_e32 v12, v23
	s_wait_alu 0xf1ff
	v_cndmask_b32_e64 v0, 0, 1, s0
	v_cmp_gt_i32_e64 s0, 31, v19
	v_lshlrev_b32_e32 v13, v13, v18
	v_and_or_b32 v2, 0x1ff, v3, v2
	v_bfe_u32 v24, v3, 20, 11
	s_wait_alu 0xf1ff
	v_cndmask_b32_e64 v23, 0x7c00, v11, s0
	v_cvt_f64_f32_e32 v[11:12], v12
	v_cmp_ne_u32_e64 s0, v13, v22
	v_add_nc_u32_e32 v22, 0xfffffc10, v14
	v_mul_f16_e32 v14, v47, v20
	v_lshrrev_b32_e32 v20, 8, v3
	v_lshl_or_b32 v0, v0, 9, 0x7c00
	s_wait_alu 0xf1ff
	v_cndmask_b32_e64 v13, 0, 1, s0
	v_cmp_ne_u32_e64 s0, 0, v2
	v_fma_f16 v14, v46, v21, -v14
	v_lshrrev_b32_e32 v3, 16, v3
	v_mul_f64_e32 v[9:10], s[6:7], v[9:10]
	v_or_b32_e32 v13, v18, v13
	s_wait_alu 0xf1ff
	v_cndmask_b32_e64 v2, 0, 1, s0
	v_lshl_or_b32 v18, v22, 12, v7
	v_cmp_gt_i32_e64 s0, 1, v22
	v_cvt_f32_f16_e32 v14, v14
	s_delay_alu instid0(VALU_DEP_4)
	v_and_or_b32 v2, 0xffe, v20, v2
	v_sub_nc_u32_e32 v20, 0x3f1, v24
	s_wait_alu 0xf1ff
	v_cndmask_b32_e64 v21, v18, v13, s0
	v_cmp_eq_u32_e64 s0, 0x40f, v19
	v_cvt_f64_f32_e32 v[13:14], v14
	v_or_b32_e32 v25, 0x1000, v2
	v_med3_i32 v20, v20, 0, 13
	s_wait_alu 0xf1ff
	v_cndmask_b32_e64 v0, v23, v0, s0
	v_and_b32_e32 v23, 7, v21
	v_add_co_u32 v18, s0, v5, s12
	v_lshrrev_b32_e32 v26, v20, v25
	s_wait_alu 0xf1ff
	v_add_co_ci_u32_e64 v19, s0, s13, v6, s0
	v_cmp_lt_i32_e64 s0, 5, v23
	v_cmp_eq_u32_e64 s1, 3, v23
	v_lshrrev_b32_e32 v21, 2, v21
	v_lshlrev_b32_e32 v20, v20, v26
	v_and_or_b32 v27, 0x8000, v1, v0
	v_add_nc_u32_e32 v23, 0xfffffc10, v24
	s_or_b32 s0, s1, s0
	v_mul_f64_e32 v[0:1], s[6:7], v[11:12]
	s_wait_alu 0xfffe
	v_add_co_ci_u32_e64 v11, s0, 0, v21, s0
	v_cmp_ne_u32_e64 s2, v20, v25
	v_cmp_ne_u32_e64 s0, 0, v7
	s_wait_alu 0xf1ff
	s_delay_alu instid0(VALU_DEP_2) | instskip(NEXT) | instid1(VALU_DEP_2)
	v_cndmask_b32_e64 v20, 0, 1, s2
	v_cndmask_b32_e64 v7, 0, 1, s0
	v_cmp_gt_i32_e64 s0, 31, v22
	v_and_or_b32 v9, 0x1ff, v10, v9
	s_delay_alu instid0(VALU_DEP_4)
	v_or_b32_e32 v12, v26, v20
	v_lshl_or_b32 v20, v23, 12, v2
	s_wait_alu 0xf1ff
	v_cndmask_b32_e64 v11, 0x7c00, v11, s0
	v_cmp_gt_i32_e64 s0, 1, v23
	v_lshl_or_b32 v7, v7, 9, 0x7c00
	s_wait_alu 0xf1ff
	s_delay_alu instid0(VALU_DEP_2) | instskip(SKIP_3) | instid1(VALU_DEP_4)
	v_cndmask_b32_e64 v12, v20, v12, s0
	v_cmp_eq_u32_e64 s0, 0x40f, v22
	v_lshrrev_b32_e32 v20, 16, v8
	v_lshrrev_b32_e32 v22, 8, v10
	v_and_b32_e32 v21, 7, v12
	s_wait_alu 0xf1ff
	v_cndmask_b32_e64 v11, v11, v7, s0
	v_cmp_ne_u32_e64 s0, 0, v9
	v_mul_f64_e32 v[7:8], s[6:7], v[13:14]
	v_bfe_u32 v13, v10, 20, 11
	v_cmp_eq_u32_e64 s1, 3, v21
	v_lshrrev_b32_e32 v12, 2, v12
	s_wait_alu 0xf1ff
	v_cndmask_b32_e64 v9, 0, 1, s0
	v_cmp_lt_i32_e64 s0, 5, v21
	v_and_or_b32 v11, 0x8000, v20, v11
	v_and_b32_e32 v14, 0xffff, v27
	v_sub_nc_u32_e32 v20, 0x3f1, v13
	v_and_or_b32 v9, 0xffe, v22, v9
	s_or_b32 s0, s1, s0
	v_and_or_b32 v0, 0x1ff, v1, v0
	s_wait_alu 0xfffe
	v_add_co_ci_u32_e64 v12, s0, 0, v12, s0
	v_lshl_or_b32 v11, v11, 16, v14
	v_or_b32_e32 v14, 0x1000, v9
	v_med3_i32 v20, v20, 0, 13
	v_cmp_ne_u32_e64 s0, 0, v2
	v_lshrrev_b32_e32 v22, 8, v1
	v_bfe_u32 v24, v1, 20, 11
	v_add_nc_u32_e32 v13, 0xfffffc10, v13
	v_lshrrev_b32_e32 v21, v20, v14
	s_wait_alu 0xf1ff
	v_cndmask_b32_e64 v2, 0, 1, s0
	v_cmp_gt_i32_e64 s0, 31, v23
	v_lshrrev_b32_e32 v10, 16, v10
	v_lshrrev_b32_e32 v1, 16, v1
	v_lshlrev_b32_e32 v20, v20, v21
	v_lshl_or_b32 v2, v2, 9, 0x7c00
	s_wait_alu 0xf1ff
	v_cndmask_b32_e64 v12, 0x7c00, v12, s0
	v_cmp_ne_u32_e64 s0, 0, v0
	s_wait_alu 0xf1ff
	s_delay_alu instid0(VALU_DEP_1) | instskip(SKIP_3) | instid1(VALU_DEP_4)
	v_cndmask_b32_e64 v0, 0, 1, s0
	v_cmp_ne_u32_e64 s0, v20, v14
	v_sub_nc_u32_e32 v20, 0x3f1, v24
	v_and_or_b32 v7, 0x1ff, v8, v7
	v_and_or_b32 v0, 0xffe, v22, v0
	s_wait_alu 0xf1ff
	v_cndmask_b32_e64 v14, 0, 1, s0
	v_cmp_eq_u32_e64 s0, 0x40f, v23
	v_med3_i32 v20, v20, 0, 13
	v_lshrrev_b32_e32 v22, 8, v8
	v_bfe_u32 v23, v8, 20, 11
	s_wait_alu 0xf1ff
	v_cndmask_b32_e64 v2, v12, v2, s0
	v_or_b32_e32 v12, v21, v14
	v_lshl_or_b32 v14, v13, 12, v9
	v_or_b32_e32 v21, 0x1000, v0
	v_cmp_gt_i32_e64 s0, 1, v13
	v_and_or_b32 v2, 0x8000, v3, v2
	s_wait_alu 0xf1ff
	s_delay_alu instid0(VALU_DEP_2) | instskip(SKIP_2) | instid1(VALU_DEP_3)
	v_cndmask_b32_e64 v12, v14, v12, s0
	v_lshrrev_b32_e32 v14, v20, v21
	v_cmp_ne_u32_e64 s0, 0, v7
	v_and_b32_e32 v25, 7, v12
	s_delay_alu instid0(VALU_DEP_3) | instskip(SKIP_1) | instid1(VALU_DEP_3)
	v_lshlrev_b32_e32 v20, v20, v14
	s_wait_alu 0xf1ff
	v_cndmask_b32_e64 v7, 0, 1, s0
	v_lshrrev_b32_e32 v12, 2, v12
	v_cmp_lt_i32_e64 s0, 5, v25
	v_cmp_ne_u32_e64 s1, v20, v21
	s_delay_alu instid0(VALU_DEP_4)
	v_and_or_b32 v3, 0xffe, v22, v7
	v_sub_nc_u32_e32 v7, 0x3f1, v23
	v_add_nc_u32_e32 v22, 0xfffffc10, v24
	s_wait_alu 0xf1ff
	v_cndmask_b32_e64 v20, 0, 1, s1
	v_cmp_eq_u32_e64 s1, 3, v25
	v_or_b32_e32 v21, 0x1000, v3
	v_med3_i32 v7, v7, 0, 13
	v_lshl_or_b32 v24, v22, 12, v0
	v_or_b32_e32 v14, v14, v20
	s_or_b32 s0, s1, s0
	s_wait_alu 0xfffe
	v_add_co_ci_u32_e64 v12, s0, 0, v12, s0
	v_lshrrev_b32_e32 v20, v7, v21
	v_cmp_gt_i32_e64 s0, 1, v22
	s_delay_alu instid0(VALU_DEP_2) | instskip(SKIP_1) | instid1(VALU_DEP_2)
	v_lshlrev_b32_e32 v7, v7, v20
	s_wait_alu 0xf1ff
	v_cndmask_b32_e64 v14, v24, v14, s0
	v_cmp_ne_u32_e64 s0, 0, v9
	s_wait_alu 0xf1ff
	s_delay_alu instid0(VALU_DEP_1) | instskip(SKIP_3) | instid1(VALU_DEP_4)
	v_cndmask_b32_e64 v9, 0, 1, s0
	v_cmp_ne_u32_e64 s0, v7, v21
	v_add_nc_u32_e32 v21, 0xfffffc10, v23
	v_and_b32_e32 v23, 7, v14
	v_lshl_or_b32 v9, v9, 9, 0x7c00
	s_wait_alu 0xf1ff
	v_cndmask_b32_e64 v7, 0, 1, s0
	v_cmp_gt_i32_e64 s0, 31, v13
	v_cmp_gt_i32_e64 s2, 1, v21
	v_cmp_eq_u32_e64 s1, 3, v23
	s_delay_alu instid0(VALU_DEP_4) | instskip(SKIP_4) | instid1(VALU_DEP_3)
	v_or_b32_e32 v7, v20, v7
	v_lshl_or_b32 v20, v21, 12, v3
	s_wait_alu 0xf1ff
	v_cndmask_b32_e64 v12, 0x7c00, v12, s0
	v_cmp_lt_i32_e64 s0, 5, v23
	v_cndmask_b32_e64 v7, v20, v7, s2
	v_cmp_eq_u32_e64 s2, 0x40f, v13
	s_delay_alu instid0(VALU_DEP_3) | instskip(NEXT) | instid1(VALU_DEP_2)
	s_or_b32 s0, s1, s0
	v_and_b32_e32 v13, 7, v7
	s_delay_alu instid0(VALU_DEP_2)
	v_cndmask_b32_e64 v9, v12, v9, s2
	v_lshrrev_b32_e32 v12, 2, v14
	v_lshrrev_b32_e32 v7, 2, v7
	v_cmp_gt_i32_e64 s2, 31, v22
	v_cmp_eq_u32_e64 s1, 3, v13
	v_and_or_b32 v9, 0x8000, v10, v9
	s_wait_alu 0xfffe
	v_add_co_ci_u32_e64 v12, s0, 0, v12, s0
	v_cmp_ne_u32_e64 s0, 0, v0
	v_and_b32_e32 v10, 0xffff, v2
	s_wait_alu 0xf1ff
	s_delay_alu instid0(VALU_DEP_3) | instskip(NEXT) | instid1(VALU_DEP_3)
	v_cndmask_b32_e64 v12, 0x7c00, v12, s2
	v_cndmask_b32_e64 v0, 0, 1, s0
	v_cmp_lt_i32_e64 s0, 5, v13
	v_lshl_or_b32 v9, v9, 16, v10
	s_delay_alu instid0(VALU_DEP_3) | instskip(NEXT) | instid1(VALU_DEP_3)
	v_lshl_or_b32 v0, v0, 9, 0x7c00
	s_or_b32 s0, s1, s0
	s_wait_alu 0xfffe
	v_add_co_ci_u32_e64 v7, s0, 0, v7, s0
	v_cmp_ne_u32_e64 s0, 0, v3
	s_wait_alu 0xf1ff
	s_delay_alu instid0(VALU_DEP_1) | instskip(SKIP_1) | instid1(VALU_DEP_2)
	v_cndmask_b32_e64 v3, 0, 1, s0
	v_cmp_eq_u32_e64 s0, 0x40f, v22
	v_lshl_or_b32 v3, v3, 9, 0x7c00
	s_wait_alu 0xf1ff
	s_delay_alu instid0(VALU_DEP_2) | instskip(SKIP_1) | instid1(VALU_DEP_2)
	v_cndmask_b32_e64 v0, v12, v0, s0
	v_cmp_gt_i32_e64 s0, 31, v21
	v_and_or_b32 v0, 0x8000, v1, v0
	s_wait_alu 0xf1ff
	s_delay_alu instid0(VALU_DEP_2) | instskip(SKIP_1) | instid1(VALU_DEP_3)
	v_cndmask_b32_e64 v7, 0x7c00, v7, s0
	v_cmp_eq_u32_e64 s0, 0x40f, v21
	v_and_b32_e32 v0, 0xffff, v0
	s_wait_alu 0xf1ff
	s_delay_alu instid0(VALU_DEP_2) | instskip(SKIP_4) | instid1(VALU_DEP_3)
	v_cndmask_b32_e64 v1, v7, v3, s0
	v_lshrrev_b32_e32 v7, 16, v8
	v_add_co_u32 v2, s0, v18, s4
	s_wait_alu 0xf1ff
	v_add_co_ci_u32_e64 v3, s0, s5, v19, s0
	v_and_or_b32 v1, 0x8000, v7, v1
	s_delay_alu instid0(VALU_DEP_3) | instskip(SKIP_1) | instid1(VALU_DEP_3)
	v_add_co_u32 v7, s0, v2, s12
	s_wait_alu 0xf1ff
	v_add_co_ci_u32_e64 v8, s0, s13, v3, s0
	s_delay_alu instid0(VALU_DEP_3) | instskip(NEXT) | instid1(VALU_DEP_3)
	v_lshl_or_b32 v10, v1, 16, v0
	v_add_co_u32 v0, s0, v7, s12
	s_wait_alu 0xf1ff
	s_delay_alu instid0(VALU_DEP_3)
	v_add_co_ci_u32_e64 v1, s0, s13, v8, s0
	global_store_b32 v[5:6], v15, off
	global_store_b32 v[18:19], v4, off
	;; [unrolled: 1-line block ×5, first 2 shown]
	s_and_b32 exec_lo, exec_lo, vcc_lo
	s_cbranch_execz .LBB0_31
; %bb.30:
	s_clause 0x2
	global_load_b32 v4, v[16:17], off offset:756
	global_load_b32 v5, v[16:17], off offset:1596
	;; [unrolled: 1-line block ×3, first 2 shown]
	v_add_nc_u32_e32 v2, 0x280, v45
	v_add_co_u32 v0, vcc_lo, v0, s4
	s_wait_alu 0xfffd
	v_add_co_ci_u32_e32 v1, vcc_lo, s5, v1, vcc_lo
	ds_load_2addr_b32 v[2:3], v2 offset0:29 offset1:239
	ds_load_b32 v6, v45 offset:2436
	s_wait_dscnt 0x1
	v_lshrrev_b32_e32 v7, 16, v2
	v_lshrrev_b32_e32 v11, 16, v3
	s_wait_dscnt 0x0
	v_lshrrev_b32_e32 v13, 16, v6
	s_wait_loadcnt 0x2
	v_lshrrev_b32_e32 v9, 16, v4
	s_wait_loadcnt 0x1
	v_lshrrev_b32_e32 v12, 16, v5
	s_delay_alu instid0(VALU_DEP_2) | instskip(SKIP_1) | instid1(VALU_DEP_3)
	v_mul_f16_e32 v10, v7, v9
	v_mul_f16_e32 v9, v2, v9
	;; [unrolled: 1-line block ×3, first 2 shown]
	s_delay_alu instid0(VALU_DEP_3) | instskip(NEXT) | instid1(VALU_DEP_3)
	v_fmac_f16_e32 v10, v2, v4
	v_fma_f16 v2, v4, v7, -v9
	s_wait_loadcnt 0x0
	v_lshrrev_b32_e32 v7, 16, v8
	v_mul_f16_e32 v9, v3, v12
	v_fmac_f16_e32 v14, v3, v5
	v_cvt_f32_f16_e32 v4, v10
	v_cvt_f32_f16_e32 v10, v2
	v_mul_f16_e32 v12, v13, v7
	v_fma_f16 v9, v5, v11, -v9
	v_cvt_f32_f16_e32 v11, v14
	v_cvt_f64_f32_e32 v[2:3], v4
	v_cvt_f64_f32_e32 v[4:5], v10
	v_mul_f16_e32 v10, v6, v7
	v_fmac_f16_e32 v12, v6, v8
	v_cvt_f32_f16_e32 v9, v9
	v_cvt_f64_f32_e32 v[6:7], v11
	v_add_co_u32 v14, vcc_lo, v0, s12
	v_fma_f16 v10, v8, v13, -v10
	v_cvt_f32_f16_e32 v11, v12
	v_cvt_f64_f32_e32 v[8:9], v9
	s_wait_alu 0xfffd
	v_add_co_ci_u32_e32 v15, vcc_lo, s13, v1, vcc_lo
	v_cvt_f32_f16_e32 v12, v10
	v_cvt_f64_f32_e32 v[10:11], v11
	s_delay_alu instid0(VALU_DEP_2)
	v_cvt_f64_f32_e32 v[12:13], v12
	v_mul_f64_e32 v[2:3], s[6:7], v[2:3]
	v_mul_f64_e32 v[4:5], s[6:7], v[4:5]
	;; [unrolled: 1-line block ×6, first 2 shown]
	v_and_or_b32 v2, 0x1ff, v3, v2
	v_and_or_b32 v4, 0x1ff, v5, v4
	v_lshrrev_b32_e32 v16, 8, v3
	v_bfe_u32 v17, v3, 20, 11
	v_lshrrev_b32_e32 v18, 8, v5
	v_cmp_ne_u32_e32 vcc_lo, 0, v2
	v_and_or_b32 v6, 0x1ff, v7, v6
	v_bfe_u32 v19, v5, 20, 11
	v_lshrrev_b32_e32 v20, 8, v7
	v_bfe_u32 v21, v7, 20, 11
	s_wait_alu 0xfffd
	v_cndmask_b32_e64 v2, 0, 1, vcc_lo
	v_cmp_ne_u32_e32 vcc_lo, 0, v4
	v_and_or_b32 v8, 0x1ff, v9, v8
	v_bfe_u32 v23, v9, 20, 11
	v_and_or_b32 v10, 0x1ff, v11, v10
	v_and_or_b32 v2, 0xffe, v16, v2
	s_wait_alu 0xfffd
	v_cndmask_b32_e64 v4, 0, 1, vcc_lo
	v_cmp_ne_u32_e32 vcc_lo, 0, v6
	v_and_or_b32 v12, 0x1ff, v13, v12
	v_sub_nc_u32_e32 v28, 0x3f1, v17
	v_add_nc_u32_e32 v17, 0xfffffc10, v17
	v_sub_nc_u32_e32 v29, 0x3f1, v19
	s_wait_alu 0xfffd
	v_cndmask_b32_e64 v6, 0, 1, vcc_lo
	v_cmp_ne_u32_e32 vcc_lo, 0, v8
	v_and_or_b32 v4, 0xffe, v18, v4
	v_lshrrev_b32_e32 v22, 8, v9
	v_bfe_u32 v25, v11, 20, 11
	v_bfe_u32 v27, v13, 20, 11
	s_wait_alu 0xfffd
	v_cndmask_b32_e64 v8, 0, 1, vcc_lo
	v_cmp_ne_u32_e32 vcc_lo, 0, v10
	v_add_nc_u32_e32 v19, 0xfffffc10, v19
	v_sub_nc_u32_e32 v30, 0x3f1, v21
	v_sub_nc_u32_e32 v31, 0x3f1, v23
	v_med3_i32 v16, v28, 0, 13
	s_wait_alu 0xfffd
	v_cndmask_b32_e64 v10, 0, 1, vcc_lo
	v_cmp_ne_u32_e32 vcc_lo, 0, v12
	v_med3_i32 v18, v29, 0, 13
	v_and_or_b32 v6, 0xffe, v20, v6
	v_or_b32_e32 v28, 0x1000, v2
	v_lshl_or_b32 v29, v17, 12, v2
	s_wait_alu 0xfffd
	v_cndmask_b32_e64 v12, 0, 1, vcc_lo
	v_cmp_ne_u32_e32 vcc_lo, 0, v2
	v_lshrrev_b32_e32 v24, 8, v11
	v_lshrrev_b32_e32 v26, 8, v13
	v_add_nc_u32_e32 v21, 0xfffffc10, v21
	v_sub_nc_u32_e32 v32, 0x3f1, v25
	s_wait_alu 0xfffd
	v_cndmask_b32_e64 v2, 0, 1, vcc_lo
	v_cmp_ne_u32_e32 vcc_lo, 0, v4
	v_sub_nc_u32_e32 v33, 0x3f1, v27
	v_med3_i32 v20, v30, 0, 13
	v_and_or_b32 v8, 0xffe, v22, v8
	v_med3_i32 v22, v31, 0, 13
	v_or_b32_e32 v30, 0x1000, v4
	v_lshl_or_b32 v31, v19, 12, v4
	s_wait_alu 0xfffd
	v_cndmask_b32_e64 v4, 0, 1, vcc_lo
	v_cmp_ne_u32_e32 vcc_lo, 0, v6
	v_add_nc_u32_e32 v23, 0xfffffc10, v23
	v_and_or_b32 v10, 0xffe, v24, v10
	v_med3_i32 v24, v32, 0, 13
	v_and_or_b32 v12, 0xffe, v26, v12
	v_med3_i32 v26, v33, 0, 13
	v_or_b32_e32 v32, 0x1000, v6
	v_lshl_or_b32 v33, v21, 12, v6
	s_wait_alu 0xfffd
	v_cndmask_b32_e64 v6, 0, 1, vcc_lo
	v_cmp_ne_u32_e32 vcc_lo, 0, v8
	v_add_nc_u32_e32 v25, 0xfffffc10, v25
	v_or_b32_e32 v34, 0x1000, v8
	v_lshl_or_b32 v35, v23, 12, v8
	v_lshrrev_b32_e32 v40, v16, v28
	s_wait_alu 0xfffd
	v_cndmask_b32_e64 v8, 0, 1, vcc_lo
	v_cmp_ne_u32_e32 vcc_lo, 0, v10
	v_add_nc_u32_e32 v27, 0xfffffc10, v27
	v_or_b32_e32 v36, 0x1000, v10
	v_lshl_or_b32 v37, v25, 12, v10
	v_lshrrev_b32_e32 v41, v18, v30
	s_wait_alu 0xfffd
	v_cndmask_b32_e64 v10, 0, 1, vcc_lo
	v_cmp_ne_u32_e32 vcc_lo, 0, v12
	v_lshlrev_b32_e32 v16, v16, v40
	v_or_b32_e32 v38, 0x1000, v12
	v_lshl_or_b32 v39, v27, 12, v12
	v_lshrrev_b32_e32 v42, v20, v32
	s_wait_alu 0xfffd
	v_cndmask_b32_e64 v12, 0, 1, vcc_lo
	v_lshlrev_b32_e32 v18, v18, v41
	v_cmp_ne_u32_e32 vcc_lo, v16, v28
	v_lshrrev_b32_e32 v43, v22, v34
	v_lshlrev_b32_e32 v20, v20, v42
	v_lshrrev_b32_e32 v44, v24, v36
	v_lshrrev_b32_e32 v45, v26, v38
	s_wait_alu 0xfffd
	v_cndmask_b32_e64 v16, 0, 1, vcc_lo
	v_cmp_ne_u32_e32 vcc_lo, v18, v30
	v_lshlrev_b32_e32 v22, v22, v43
	v_lshlrev_b32_e32 v24, v24, v44
	;; [unrolled: 1-line block ×3, first 2 shown]
	v_or_b32_e32 v16, v40, v16
	s_wait_alu 0xfffd
	v_cndmask_b32_e64 v18, 0, 1, vcc_lo
	v_cmp_ne_u32_e32 vcc_lo, v20, v32
	v_lshl_or_b32 v2, v2, 9, 0x7c00
	v_lshl_or_b32 v4, v4, 9, 0x7c00
	;; [unrolled: 1-line block ×3, first 2 shown]
	v_or_b32_e32 v18, v41, v18
	s_wait_alu 0xfffd
	v_cndmask_b32_e64 v20, 0, 1, vcc_lo
	v_cmp_ne_u32_e32 vcc_lo, v22, v34
	v_lshl_or_b32 v8, v8, 9, 0x7c00
	v_lshl_or_b32 v10, v10, 9, 0x7c00
	v_lshrrev_b32_e32 v3, 16, v3
	v_or_b32_e32 v20, v42, v20
	s_wait_alu 0xfffd
	v_cndmask_b32_e64 v22, 0, 1, vcc_lo
	v_cmp_ne_u32_e32 vcc_lo, v24, v36
	v_lshrrev_b32_e32 v7, 16, v7
	v_lshrrev_b32_e32 v5, 16, v5
	;; [unrolled: 1-line block ×3, first 2 shown]
	v_or_b32_e32 v22, v43, v22
	s_wait_alu 0xfffd
	v_cndmask_b32_e64 v24, 0, 1, vcc_lo
	v_cmp_ne_u32_e32 vcc_lo, v26, v38
	v_lshl_or_b32 v12, v12, 9, 0x7c00
	v_lshrrev_b32_e32 v9, 16, v9
	v_lshrrev_b32_e32 v13, 16, v13
	v_or_b32_e32 v24, v44, v24
	s_wait_alu 0xfffd
	v_cndmask_b32_e64 v26, 0, 1, vcc_lo
	v_cmp_gt_i32_e32 vcc_lo, 1, v17
	s_delay_alu instid0(VALU_DEP_2) | instskip(SKIP_3) | instid1(VALU_DEP_2)
	v_or_b32_e32 v26, v45, v26
	s_wait_alu 0xfffd
	v_cndmask_b32_e32 v16, v29, v16, vcc_lo
	v_cmp_gt_i32_e32 vcc_lo, 1, v19
	v_and_b32_e32 v28, 7, v16
	s_wait_alu 0xfffd
	v_cndmask_b32_e32 v18, v31, v18, vcc_lo
	v_cmp_gt_i32_e32 vcc_lo, 1, v21
	v_lshrrev_b32_e32 v16, 2, v16
	v_cmp_eq_u32_e64 s0, 3, v28
	s_wait_alu 0xfffd
	v_cndmask_b32_e32 v20, v33, v20, vcc_lo
	v_cmp_gt_i32_e32 vcc_lo, 1, v23
	s_delay_alu instid0(VALU_DEP_2)
	v_and_b32_e32 v30, 7, v20
	s_wait_alu 0xfffd
	v_cndmask_b32_e32 v22, v35, v22, vcc_lo
	v_cmp_gt_i32_e32 vcc_lo, 1, v25
	v_lshrrev_b32_e32 v20, 2, v20
	v_cmp_lt_i32_e64 s3, 5, v30
	v_cmp_eq_u32_e64 s4, 3, v30
	s_wait_alu 0xfffd
	v_cndmask_b32_e32 v24, v37, v24, vcc_lo
	v_cmp_gt_i32_e32 vcc_lo, 1, v27
	s_delay_alu instid0(VALU_DEP_2)
	v_and_b32_e32 v32, 7, v24
	s_wait_alu 0xfffd
	v_cndmask_b32_e32 v26, v39, v26, vcc_lo
	v_cmp_lt_i32_e32 vcc_lo, 5, v28
	v_lshrrev_b32_e32 v24, 2, v24
	v_cmp_lt_i32_e64 s7, 5, v32
	v_cmp_eq_u32_e64 s8, 3, v32
	s_or_b32 vcc_lo, s0, vcc_lo
	s_wait_alu 0xfffe
	v_add_co_ci_u32_e32 v16, vcc_lo, 0, v16, vcc_lo
	v_and_b32_e32 v29, 7, v18
	v_lshrrev_b32_e32 v18, 2, v18
	s_delay_alu instid0(VALU_DEP_2) | instskip(SKIP_1) | instid1(VALU_DEP_1)
	v_cmp_lt_i32_e64 s1, 5, v29
	v_cmp_eq_u32_e64 s2, 3, v29
	s_or_b32 vcc_lo, s2, s1
	s_wait_alu 0xfffe
	v_add_co_ci_u32_e32 v18, vcc_lo, 0, v18, vcc_lo
	s_or_b32 vcc_lo, s4, s3
	s_wait_alu 0xfffe
	v_add_co_ci_u32_e32 v20, vcc_lo, 0, v20, vcc_lo
	v_and_b32_e32 v31, 7, v22
	v_lshrrev_b32_e32 v22, 2, v22
	s_delay_alu instid0(VALU_DEP_2) | instskip(SKIP_1) | instid1(VALU_DEP_1)
	v_cmp_lt_i32_e64 s5, 5, v31
	v_cmp_eq_u32_e64 s6, 3, v31
	s_or_b32 vcc_lo, s6, s5
	s_wait_alu 0xfffe
	v_add_co_ci_u32_e32 v22, vcc_lo, 0, v22, vcc_lo
	s_or_b32 vcc_lo, s8, s7
	s_wait_alu 0xfffe
	v_add_co_ci_u32_e32 v24, vcc_lo, 0, v24, vcc_lo
	v_and_b32_e32 v33, 7, v26
	v_lshrrev_b32_e32 v26, 2, v26
	s_delay_alu instid0(VALU_DEP_2) | instskip(SKIP_1) | instid1(VALU_DEP_1)
	v_cmp_lt_i32_e64 s9, 5, v33
	v_cmp_eq_u32_e64 s10, 3, v33
	s_or_b32 vcc_lo, s10, s9
	s_wait_alu 0xfffe
	v_add_co_ci_u32_e32 v26, vcc_lo, 0, v26, vcc_lo
	v_cmp_gt_i32_e32 vcc_lo, 31, v17
	s_wait_alu 0xfffd
	v_cndmask_b32_e32 v16, 0x7c00, v16, vcc_lo
	v_cmp_gt_i32_e32 vcc_lo, 31, v19
	s_wait_alu 0xfffd
	v_cndmask_b32_e32 v18, 0x7c00, v18, vcc_lo
	;; [unrolled: 3-line block ×6, first 2 shown]
	v_cmp_eq_u32_e32 vcc_lo, 0x40f, v17
	s_wait_alu 0xfffd
	v_cndmask_b32_e32 v2, v16, v2, vcc_lo
	v_cmp_eq_u32_e32 vcc_lo, 0x40f, v19
	s_delay_alu instid0(VALU_DEP_2) | instskip(SKIP_3) | instid1(VALU_DEP_2)
	v_and_or_b32 v2, 0x8000, v3, v2
	s_wait_alu 0xfffd
	v_cndmask_b32_e32 v4, v18, v4, vcc_lo
	v_cmp_eq_u32_e32 vcc_lo, 0x40f, v21
	v_and_or_b32 v4, 0x8000, v5, v4
	s_wait_alu 0xfffd
	v_cndmask_b32_e32 v6, v20, v6, vcc_lo
	v_cmp_eq_u32_e32 vcc_lo, 0x40f, v23
	s_delay_alu instid0(VALU_DEP_2) | instskip(SKIP_3) | instid1(VALU_DEP_2)
	v_and_or_b32 v3, 0x8000, v7, v6
	s_wait_alu 0xfffd
	v_cndmask_b32_e32 v8, v22, v8, vcc_lo
	v_cmp_eq_u32_e32 vcc_lo, 0x40f, v25
	v_and_or_b32 v6, 0x8000, v9, v8
	s_wait_alu 0xfffd
	v_cndmask_b32_e32 v10, v24, v10, vcc_lo
	v_cmp_eq_u32_e32 vcc_lo, 0x40f, v27
	v_and_b32_e32 v8, 0xffff, v2
	v_and_b32_e32 v9, 0xffff, v3
	s_delay_alu instid0(VALU_DEP_4)
	v_and_or_b32 v5, 0x8000, v11, v10
	s_wait_alu 0xfffd
	v_cndmask_b32_e32 v12, v26, v12, vcc_lo
	v_add_co_u32 v2, vcc_lo, v14, s12
	v_lshl_or_b32 v4, v4, 16, v8
	v_and_b32_e32 v5, 0xffff, v5
	s_delay_alu instid0(VALU_DEP_4) | instskip(SKIP_3) | instid1(VALU_DEP_3)
	v_and_or_b32 v7, 0x8000, v13, v12
	v_lshl_or_b32 v6, v6, 16, v9
	s_wait_alu 0xfffd
	v_add_co_ci_u32_e32 v3, vcc_lo, s13, v15, vcc_lo
	v_lshl_or_b32 v5, v7, 16, v5
	global_store_b32 v[0:1], v4, off
	global_store_b32 v[14:15], v6, off
	;; [unrolled: 1-line block ×3, first 2 shown]
.LBB0_31:
	s_nop 0
	s_sendmsg sendmsg(MSG_DEALLOC_VGPRS)
	s_endpgm
	.section	.rodata,"a",@progbits
	.p2align	6, 0x0
	.amdhsa_kernel bluestein_single_back_len630_dim1_half_op_CI_CI
		.amdhsa_group_segment_fixed_size 2520
		.amdhsa_private_segment_fixed_size 0
		.amdhsa_kernarg_size 104
		.amdhsa_user_sgpr_count 2
		.amdhsa_user_sgpr_dispatch_ptr 0
		.amdhsa_user_sgpr_queue_ptr 0
		.amdhsa_user_sgpr_kernarg_segment_ptr 1
		.amdhsa_user_sgpr_dispatch_id 0
		.amdhsa_user_sgpr_private_segment_size 0
		.amdhsa_wavefront_size32 1
		.amdhsa_uses_dynamic_stack 0
		.amdhsa_enable_private_segment 0
		.amdhsa_system_sgpr_workgroup_id_x 1
		.amdhsa_system_sgpr_workgroup_id_y 0
		.amdhsa_system_sgpr_workgroup_id_z 0
		.amdhsa_system_sgpr_workgroup_info 0
		.amdhsa_system_vgpr_workitem_id 0
		.amdhsa_next_free_vgpr 147
		.amdhsa_next_free_sgpr 18
		.amdhsa_reserve_vcc 1
		.amdhsa_float_round_mode_32 0
		.amdhsa_float_round_mode_16_64 0
		.amdhsa_float_denorm_mode_32 3
		.amdhsa_float_denorm_mode_16_64 3
		.amdhsa_fp16_overflow 0
		.amdhsa_workgroup_processor_mode 1
		.amdhsa_memory_ordered 1
		.amdhsa_forward_progress 0
		.amdhsa_round_robin_scheduling 0
		.amdhsa_exception_fp_ieee_invalid_op 0
		.amdhsa_exception_fp_denorm_src 0
		.amdhsa_exception_fp_ieee_div_zero 0
		.amdhsa_exception_fp_ieee_overflow 0
		.amdhsa_exception_fp_ieee_underflow 0
		.amdhsa_exception_fp_ieee_inexact 0
		.amdhsa_exception_int_div_zero 0
	.end_amdhsa_kernel
	.text
.Lfunc_end0:
	.size	bluestein_single_back_len630_dim1_half_op_CI_CI, .Lfunc_end0-bluestein_single_back_len630_dim1_half_op_CI_CI
                                        ; -- End function
	.section	.AMDGPU.csdata,"",@progbits
; Kernel info:
; codeLenInByte = 21568
; NumSgprs: 20
; NumVgprs: 147
; ScratchSize: 0
; MemoryBound: 0
; FloatMode: 240
; IeeeMode: 1
; LDSByteSize: 2520 bytes/workgroup (compile time only)
; SGPRBlocks: 2
; VGPRBlocks: 18
; NumSGPRsForWavesPerEU: 20
; NumVGPRsForWavesPerEU: 147
; Occupancy: 9
; WaveLimiterHint : 1
; COMPUTE_PGM_RSRC2:SCRATCH_EN: 0
; COMPUTE_PGM_RSRC2:USER_SGPR: 2
; COMPUTE_PGM_RSRC2:TRAP_HANDLER: 0
; COMPUTE_PGM_RSRC2:TGID_X_EN: 1
; COMPUTE_PGM_RSRC2:TGID_Y_EN: 0
; COMPUTE_PGM_RSRC2:TGID_Z_EN: 0
; COMPUTE_PGM_RSRC2:TIDIG_COMP_CNT: 0
	.text
	.p2alignl 7, 3214868480
	.fill 96, 4, 3214868480
	.type	__hip_cuid_8ce71cdf34d47b25,@object ; @__hip_cuid_8ce71cdf34d47b25
	.section	.bss,"aw",@nobits
	.globl	__hip_cuid_8ce71cdf34d47b25
__hip_cuid_8ce71cdf34d47b25:
	.byte	0                               ; 0x0
	.size	__hip_cuid_8ce71cdf34d47b25, 1

	.ident	"AMD clang version 19.0.0git (https://github.com/RadeonOpenCompute/llvm-project roc-6.4.0 25133 c7fe45cf4b819c5991fe208aaa96edf142730f1d)"
	.section	".note.GNU-stack","",@progbits
	.addrsig
	.addrsig_sym __hip_cuid_8ce71cdf34d47b25
	.amdgpu_metadata
---
amdhsa.kernels:
  - .args:
      - .actual_access:  read_only
        .address_space:  global
        .offset:         0
        .size:           8
        .value_kind:     global_buffer
      - .actual_access:  read_only
        .address_space:  global
        .offset:         8
        .size:           8
        .value_kind:     global_buffer
      - .actual_access:  read_only
        .address_space:  global
        .offset:         16
        .size:           8
        .value_kind:     global_buffer
      - .actual_access:  read_only
        .address_space:  global
        .offset:         24
        .size:           8
        .value_kind:     global_buffer
      - .actual_access:  read_only
        .address_space:  global
        .offset:         32
        .size:           8
        .value_kind:     global_buffer
      - .offset:         40
        .size:           8
        .value_kind:     by_value
      - .address_space:  global
        .offset:         48
        .size:           8
        .value_kind:     global_buffer
      - .address_space:  global
        .offset:         56
        .size:           8
        .value_kind:     global_buffer
      - .address_space:  global
        .offset:         64
        .size:           8
        .value_kind:     global_buffer
      - .address_space:  global
        .offset:         72
        .size:           8
        .value_kind:     global_buffer
      - .offset:         80
        .size:           4
        .value_kind:     by_value
      - .address_space:  global
        .offset:         88
        .size:           8
        .value_kind:     global_buffer
      - .address_space:  global
        .offset:         96
        .size:           8
        .value_kind:     global_buffer
    .group_segment_fixed_size: 2520
    .kernarg_segment_align: 8
    .kernarg_segment_size: 104
    .language:       OpenCL C
    .language_version:
      - 2
      - 0
    .max_flat_workgroup_size: 63
    .name:           bluestein_single_back_len630_dim1_half_op_CI_CI
    .private_segment_fixed_size: 0
    .sgpr_count:     20
    .sgpr_spill_count: 0
    .symbol:         bluestein_single_back_len630_dim1_half_op_CI_CI.kd
    .uniform_work_group_size: 1
    .uses_dynamic_stack: false
    .vgpr_count:     147
    .vgpr_spill_count: 0
    .wavefront_size: 32
    .workgroup_processor_mode: 1
amdhsa.target:   amdgcn-amd-amdhsa--gfx1201
amdhsa.version:
  - 1
  - 2
...

	.end_amdgpu_metadata
